;; amdgpu-corpus repo=zjin-lcf/HeCBench kind=compiled arch=gfx1030 opt=O3
	.amdgcn_target "amdgcn-amd-amdhsa--gfx1030"
	.amdhsa_code_object_version 6
	.section	.text._Z20BlockPrefixSumKernelILi1024ELi1ELN6hipcub16HIPCUB_304000_NS18BlockScanAlgorithmE1EEvPKiPi,"axG",@progbits,_Z20BlockPrefixSumKernelILi1024ELi1ELN6hipcub16HIPCUB_304000_NS18BlockScanAlgorithmE1EEvPKiPi,comdat
	.protected	_Z20BlockPrefixSumKernelILi1024ELi1ELN6hipcub16HIPCUB_304000_NS18BlockScanAlgorithmE1EEvPKiPi ; -- Begin function _Z20BlockPrefixSumKernelILi1024ELi1ELN6hipcub16HIPCUB_304000_NS18BlockScanAlgorithmE1EEvPKiPi
	.globl	_Z20BlockPrefixSumKernelILi1024ELi1ELN6hipcub16HIPCUB_304000_NS18BlockScanAlgorithmE1EEvPKiPi
	.p2align	8
	.type	_Z20BlockPrefixSumKernelILi1024ELi1ELN6hipcub16HIPCUB_304000_NS18BlockScanAlgorithmE1EEvPKiPi,@function
_Z20BlockPrefixSumKernelILi1024ELi1ELN6hipcub16HIPCUB_304000_NS18BlockScanAlgorithmE1EEvPKiPi: ; @_Z20BlockPrefixSumKernelILi1024ELi1ELN6hipcub16HIPCUB_304000_NS18BlockScanAlgorithmE1EEvPKiPi
; %bb.0:
	s_load_dwordx4 s[0:3], s[4:5], 0x0
	v_mbcnt_lo_u32_b32 v5, -1, 0
	v_and_b32_e32 v2, 0x3e0, v0
	v_lshlrev_b32_e32 v1, 2, v5
	v_lshlrev_b32_e32 v2, 2, v2
	s_waitcnt lgkmcnt(0)
	v_add_co_u32 v3, s0, s0, v1
	v_add_co_ci_u32_e64 v4, null, s1, 0, s0
	s_mov_b32 s0, exec_lo
	v_add_co_u32 v3, vcc_lo, v3, v2
	v_add_co_ci_u32_e64 v4, null, 0, v4, vcc_lo
	global_load_dword v4, v[3:4], off
	v_or_b32_e32 v3, v1, v2
	s_waitcnt vmcnt(0)
	ds_write_b32 v3, v4
	; wave barrier
	ds_read_b32 v6, v3
	v_lshrrev_b32_e32 v4, 3, v0
	s_waitcnt lgkmcnt(0)
	s_barrier
	buffer_gl0_inv
	v_and_b32_e32 v7, 0x7c, v4
	v_mov_b32_e32 v4, 0
	v_lshl_add_u32 v7, v0, 2, v7
	ds_write_b32 v7, v6
	s_waitcnt lgkmcnt(0)
	s_barrier
	buffer_gl0_inv
	v_cmpx_gt_u32_e32 32, v0
	s_cbranch_execz .LBB0_2
; %bb.1:
	v_mul_u32_u24_e32 v19, 0x84, v0
	ds_read2_b32 v[7:8], v19 offset1:1
	ds_read2_b32 v[9:10], v19 offset0:2 offset1:3
	ds_read2_b32 v[11:12], v19 offset0:4 offset1:5
	;; [unrolled: 1-line block ×5, first 2 shown]
	s_waitcnt lgkmcnt(5)
	v_add_nc_u32_e32 v8, v8, v7
	s_waitcnt lgkmcnt(4)
	v_add3_u32 v8, v8, v9, v10
	s_waitcnt lgkmcnt(3)
	v_add3_u32 v10, v8, v11, v12
	ds_read2_b32 v[8:9], v19 offset0:12 offset1:13
	s_waitcnt lgkmcnt(3)
	v_add3_u32 v12, v10, v13, v14
	ds_read2_b32 v[10:11], v19 offset0:14 offset1:15
	s_waitcnt lgkmcnt(3)
	v_add3_u32 v14, v12, v15, v16
	ds_read2_b32 v[12:13], v19 offset0:16 offset1:17
	s_waitcnt lgkmcnt(3)
	v_add3_u32 v18, v14, v17, v18
	ds_read2_b32 v[14:15], v19 offset0:18 offset1:19
	ds_read2_b32 v[16:17], v19 offset0:20 offset1:21
	s_waitcnt lgkmcnt(4)
	v_add3_u32 v8, v18, v8, v9
	s_waitcnt lgkmcnt(3)
	v_add3_u32 v10, v8, v10, v11
	ds_read2_b32 v[8:9], v19 offset0:22 offset1:23
	s_waitcnt lgkmcnt(3)
	v_add3_u32 v12, v10, v12, v13
	ds_read2_b32 v[10:11], v19 offset0:24 offset1:25
	;; [unrolled: 3-line block ×4, first 2 shown]
	ds_read2_b32 v[16:17], v19 offset0:30 offset1:31
	; wave barrier
	s_waitcnt lgkmcnt(4)
	v_add3_u32 v8, v18, v8, v9
	v_and_b32_e32 v9, 15, v5
	s_waitcnt lgkmcnt(3)
	v_add3_u32 v8, v8, v10, v11
	v_cmp_ne_u32_e32 vcc_lo, 0, v9
	v_bfe_i32 v11, v5, 4, 1
	s_waitcnt lgkmcnt(2)
	v_add3_u32 v8, v8, v12, v13
	s_waitcnt lgkmcnt(1)
	v_add3_u32 v8, v8, v14, v15
	;; [unrolled: 2-line block ×3, first 2 shown]
	v_mov_b32_dpp v10, v8 row_shr:1 row_mask:0xf bank_mask:0xf
	v_cndmask_b32_e32 v10, 0, v10, vcc_lo
	v_cmp_lt_u32_e32 vcc_lo, 1, v9
	v_add_nc_u32_e32 v8, v10, v8
	v_mov_b32_dpp v10, v8 row_shr:2 row_mask:0xf bank_mask:0xf
	v_cndmask_b32_e32 v10, 0, v10, vcc_lo
	v_cmp_lt_u32_e32 vcc_lo, 3, v9
	v_add_nc_u32_e32 v8, v8, v10
	v_mov_b32_dpp v10, v8 row_shr:4 row_mask:0xf bank_mask:0xf
	v_cndmask_b32_e32 v10, 0, v10, vcc_lo
	v_cmp_lt_u32_e32 vcc_lo, 7, v9
	v_add_nc_u32_e32 v8, v8, v10
	v_mov_b32_dpp v10, v8 row_shr:8 row_mask:0xf bank_mask:0xf
	v_cndmask_b32_e32 v9, 0, v10, vcc_lo
	v_add_nc_u32_e32 v10, -1, v5
	v_add_nc_u32_e32 v8, v8, v9
	v_cmp_gt_i32_e32 vcc_lo, 0, v10
	ds_swizzle_b32 v9, v8 offset:swizzle(BROADCAST,32,15)
	v_cndmask_b32_e32 v5, v10, v5, vcc_lo
	v_cmp_eq_u32_e32 vcc_lo, 0, v0
	v_lshlrev_b32_e32 v5, 2, v5
	s_waitcnt lgkmcnt(0)
	v_and_b32_e32 v9, v11, v9
	v_add_nc_u32_e32 v8, v8, v9
	ds_bpermute_b32 v5, v5, v8
	s_waitcnt lgkmcnt(0)
	v_add_nc_u32_e32 v5, v5, v7
	v_cndmask_b32_e32 v13, v5, v6, vcc_lo
	ds_write_b32 v19, v13
	; wave barrier
	ds_read2_b32 v[5:6], v19 offset0:1 offset1:2
	ds_read2_b32 v[7:8], v19 offset0:3 offset1:4
	ds_read2_b32 v[9:10], v19 offset0:5 offset1:6
	ds_read2_b32 v[11:12], v19 offset0:7 offset1:8
	s_waitcnt lgkmcnt(3)
	v_add_nc_u32_e32 v13, v5, v13
	v_add_nc_u32_e32 v14, v6, v13
	ds_read2_b32 v[5:6], v19 offset0:9 offset1:10
	s_waitcnt lgkmcnt(3)
	v_add_nc_u32_e32 v15, v7, v14
	v_add_nc_u32_e32 v16, v8, v15
	ds_read2_b32 v[7:8], v19 offset0:11 offset1:12
	s_waitcnt lgkmcnt(3)
	v_add_nc_u32_e32 v17, v9, v16
	v_add_nc_u32_e32 v18, v10, v17
	s_waitcnt lgkmcnt(2)
	v_add_nc_u32_e32 v20, v11, v18
	v_add_nc_u32_e32 v21, v12, v20
	ds_read2_b32 v[9:10], v19 offset0:13 offset1:14
	ds_read2_b32 v[11:12], v19 offset0:15 offset1:16
	s_waitcnt lgkmcnt(3)
	v_add_nc_u32_e32 v22, v5, v21
	v_add_nc_u32_e32 v23, v6, v22
	ds_read2_b32 v[5:6], v19 offset0:17 offset1:18
	s_waitcnt lgkmcnt(3)
	v_add_nc_u32_e32 v24, v7, v23
	v_add_nc_u32_e32 v25, v8, v24
	;; [unrolled: 4-line block ×3, first 2 shown]
	s_waitcnt lgkmcnt(2)
	v_add_nc_u32_e32 v28, v11, v27
	v_add_nc_u32_e32 v29, v12, v28
	ds_read2_b32 v[9:10], v19 offset0:21 offset1:22
	ds_read2_b32 v[11:12], v19 offset0:23 offset1:24
	s_waitcnt lgkmcnt(3)
	v_add_nc_u32_e32 v30, v5, v29
	v_add_nc_u32_e32 v31, v6, v30
	ds_read2_b32 v[5:6], v19 offset0:25 offset1:26
	s_waitcnt lgkmcnt(3)
	v_add_nc_u32_e32 v32, v7, v31
	v_add_nc_u32_e32 v33, v8, v32
	;; [unrolled: 4-line block ×3, first 2 shown]
	ds_read2_b32 v[9:10], v19 offset0:29 offset1:30
	ds_read_b32 v36, v19 offset:124
	ds_write2_b32 v19, v13, v14 offset0:1 offset1:2
	ds_write2_b32 v19, v15, v16 offset0:3 offset1:4
	;; [unrolled: 1-line block ×11, first 2 shown]
	s_waitcnt lgkmcnt(15)
	v_add_nc_u32_e32 v11, v11, v35
	v_add_nc_u32_e32 v12, v12, v11
	s_waitcnt lgkmcnt(14)
	v_add_nc_u32_e32 v5, v5, v12
	v_add_nc_u32_e32 v6, v6, v5
	;; [unrolled: 3-line block ×4, first 2 shown]
	s_waitcnt lgkmcnt(11)
	v_add_nc_u32_e32 v13, v36, v10
	ds_write2_b32 v19, v11, v12 offset0:23 offset1:24
	ds_write2_b32 v19, v5, v6 offset0:25 offset1:26
	;; [unrolled: 1-line block ×4, first 2 shown]
	ds_write_b32 v19, v13 offset:124
.LBB0_2:
	s_or_b32 exec_lo, exec_lo, s0
	s_mov_b32 s1, exec_lo
	v_cmp_eq_u32_e32 vcc_lo, 0, v0
	s_waitcnt lgkmcnt(0)
	s_barrier
	buffer_gl0_inv
	v_cmpx_ne_u32_e32 0, v0
	s_cbranch_execz .LBB0_4
; %bb.3:
	v_add_nc_u32_e32 v0, -1, v0
	v_lshrrev_b32_e32 v4, 3, v0
	v_and_b32_e32 v4, 0x1ffffffc, v4
	v_lshl_add_u32 v0, v0, 2, v4
	ds_read_b32 v4, v0
.LBB0_4:
	s_or_b32 exec_lo, exec_lo, s1
	v_mov_b32_e32 v0, 0
	v_add_co_u32 v1, s0, s2, v1
	ds_read_b32 v0, v0 offset:4216
	s_waitcnt lgkmcnt(0)
	s_barrier
	buffer_gl0_inv
	ds_write_b32 v3, v4
	; wave barrier
	ds_read_b32 v3, v3
	v_add_co_ci_u32_e64 v4, null, s3, 0, s0
	v_add_co_u32 v1, s0, v1, v2
	v_add_co_ci_u32_e64 v2, null, 0, v4, s0
	s_waitcnt lgkmcnt(0)
	global_store_dword v[1:2], v3, off
	s_and_saveexec_b32 s0, vcc_lo
	s_cbranch_execz .LBB0_6
; %bb.5:
	v_mov_b32_e32 v1, 0x1000
	global_store_dword v1, v0, s[2:3]
.LBB0_6:
	s_endpgm
	.section	.rodata,"a",@progbits
	.p2align	6, 0x0
	.amdhsa_kernel _Z20BlockPrefixSumKernelILi1024ELi1ELN6hipcub16HIPCUB_304000_NS18BlockScanAlgorithmE1EEvPKiPi
		.amdhsa_group_segment_fixed_size 4224
		.amdhsa_private_segment_fixed_size 0
		.amdhsa_kernarg_size 16
		.amdhsa_user_sgpr_count 6
		.amdhsa_user_sgpr_private_segment_buffer 1
		.amdhsa_user_sgpr_dispatch_ptr 0
		.amdhsa_user_sgpr_queue_ptr 0
		.amdhsa_user_sgpr_kernarg_segment_ptr 1
		.amdhsa_user_sgpr_dispatch_id 0
		.amdhsa_user_sgpr_flat_scratch_init 0
		.amdhsa_user_sgpr_private_segment_size 0
		.amdhsa_wavefront_size32 1
		.amdhsa_uses_dynamic_stack 0
		.amdhsa_system_sgpr_private_segment_wavefront_offset 0
		.amdhsa_system_sgpr_workgroup_id_x 1
		.amdhsa_system_sgpr_workgroup_id_y 0
		.amdhsa_system_sgpr_workgroup_id_z 0
		.amdhsa_system_sgpr_workgroup_info 0
		.amdhsa_system_vgpr_workitem_id 0
		.amdhsa_next_free_vgpr 37
		.amdhsa_next_free_sgpr 6
		.amdhsa_reserve_vcc 1
		.amdhsa_reserve_flat_scratch 0
		.amdhsa_float_round_mode_32 0
		.amdhsa_float_round_mode_16_64 0
		.amdhsa_float_denorm_mode_32 3
		.amdhsa_float_denorm_mode_16_64 3
		.amdhsa_dx10_clamp 1
		.amdhsa_ieee_mode 1
		.amdhsa_fp16_overflow 0
		.amdhsa_workgroup_processor_mode 1
		.amdhsa_memory_ordered 1
		.amdhsa_forward_progress 1
		.amdhsa_shared_vgpr_count 0
		.amdhsa_exception_fp_ieee_invalid_op 0
		.amdhsa_exception_fp_denorm_src 0
		.amdhsa_exception_fp_ieee_div_zero 0
		.amdhsa_exception_fp_ieee_overflow 0
		.amdhsa_exception_fp_ieee_underflow 0
		.amdhsa_exception_fp_ieee_inexact 0
		.amdhsa_exception_int_div_zero 0
	.end_amdhsa_kernel
	.section	.text._Z20BlockPrefixSumKernelILi1024ELi1ELN6hipcub16HIPCUB_304000_NS18BlockScanAlgorithmE1EEvPKiPi,"axG",@progbits,_Z20BlockPrefixSumKernelILi1024ELi1ELN6hipcub16HIPCUB_304000_NS18BlockScanAlgorithmE1EEvPKiPi,comdat
.Lfunc_end0:
	.size	_Z20BlockPrefixSumKernelILi1024ELi1ELN6hipcub16HIPCUB_304000_NS18BlockScanAlgorithmE1EEvPKiPi, .Lfunc_end0-_Z20BlockPrefixSumKernelILi1024ELi1ELN6hipcub16HIPCUB_304000_NS18BlockScanAlgorithmE1EEvPKiPi
                                        ; -- End function
	.set _Z20BlockPrefixSumKernelILi1024ELi1ELN6hipcub16HIPCUB_304000_NS18BlockScanAlgorithmE1EEvPKiPi.num_vgpr, 37
	.set _Z20BlockPrefixSumKernelILi1024ELi1ELN6hipcub16HIPCUB_304000_NS18BlockScanAlgorithmE1EEvPKiPi.num_agpr, 0
	.set _Z20BlockPrefixSumKernelILi1024ELi1ELN6hipcub16HIPCUB_304000_NS18BlockScanAlgorithmE1EEvPKiPi.numbered_sgpr, 6
	.set _Z20BlockPrefixSumKernelILi1024ELi1ELN6hipcub16HIPCUB_304000_NS18BlockScanAlgorithmE1EEvPKiPi.num_named_barrier, 0
	.set _Z20BlockPrefixSumKernelILi1024ELi1ELN6hipcub16HIPCUB_304000_NS18BlockScanAlgorithmE1EEvPKiPi.private_seg_size, 0
	.set _Z20BlockPrefixSumKernelILi1024ELi1ELN6hipcub16HIPCUB_304000_NS18BlockScanAlgorithmE1EEvPKiPi.uses_vcc, 1
	.set _Z20BlockPrefixSumKernelILi1024ELi1ELN6hipcub16HIPCUB_304000_NS18BlockScanAlgorithmE1EEvPKiPi.uses_flat_scratch, 0
	.set _Z20BlockPrefixSumKernelILi1024ELi1ELN6hipcub16HIPCUB_304000_NS18BlockScanAlgorithmE1EEvPKiPi.has_dyn_sized_stack, 0
	.set _Z20BlockPrefixSumKernelILi1024ELi1ELN6hipcub16HIPCUB_304000_NS18BlockScanAlgorithmE1EEvPKiPi.has_recursion, 0
	.set _Z20BlockPrefixSumKernelILi1024ELi1ELN6hipcub16HIPCUB_304000_NS18BlockScanAlgorithmE1EEvPKiPi.has_indirect_call, 0
	.section	.AMDGPU.csdata,"",@progbits
; Kernel info:
; codeLenInByte = 1292
; TotalNumSgprs: 8
; NumVgprs: 37
; ScratchSize: 0
; MemoryBound: 0
; FloatMode: 240
; IeeeMode: 1
; LDSByteSize: 4224 bytes/workgroup (compile time only)
; SGPRBlocks: 0
; VGPRBlocks: 4
; NumSGPRsForWavesPerEU: 8
; NumVGPRsForWavesPerEU: 37
; Occupancy: 16
; WaveLimiterHint : 0
; COMPUTE_PGM_RSRC2:SCRATCH_EN: 0
; COMPUTE_PGM_RSRC2:USER_SGPR: 6
; COMPUTE_PGM_RSRC2:TRAP_HANDLER: 0
; COMPUTE_PGM_RSRC2:TGID_X_EN: 1
; COMPUTE_PGM_RSRC2:TGID_Y_EN: 0
; COMPUTE_PGM_RSRC2:TGID_Z_EN: 0
; COMPUTE_PGM_RSRC2:TIDIG_COMP_CNT: 0
	.section	.text._Z20BlockPrefixSumKernelILi512ELi2ELN6hipcub16HIPCUB_304000_NS18BlockScanAlgorithmE1EEvPKiPi,"axG",@progbits,_Z20BlockPrefixSumKernelILi512ELi2ELN6hipcub16HIPCUB_304000_NS18BlockScanAlgorithmE1EEvPKiPi,comdat
	.protected	_Z20BlockPrefixSumKernelILi512ELi2ELN6hipcub16HIPCUB_304000_NS18BlockScanAlgorithmE1EEvPKiPi ; -- Begin function _Z20BlockPrefixSumKernelILi512ELi2ELN6hipcub16HIPCUB_304000_NS18BlockScanAlgorithmE1EEvPKiPi
	.globl	_Z20BlockPrefixSumKernelILi512ELi2ELN6hipcub16HIPCUB_304000_NS18BlockScanAlgorithmE1EEvPKiPi
	.p2align	8
	.type	_Z20BlockPrefixSumKernelILi512ELi2ELN6hipcub16HIPCUB_304000_NS18BlockScanAlgorithmE1EEvPKiPi,@function
_Z20BlockPrefixSumKernelILi512ELi2ELN6hipcub16HIPCUB_304000_NS18BlockScanAlgorithmE1EEvPKiPi: ; @_Z20BlockPrefixSumKernelILi512ELi2ELN6hipcub16HIPCUB_304000_NS18BlockScanAlgorithmE1EEvPKiPi
; %bb.0:
	s_load_dwordx4 s[0:3], s[4:5], 0x0
	v_lshlrev_b32_e32 v10, 1, v0
	v_mbcnt_lo_u32_b32 v9, -1, 0
	v_and_b32_e32 v5, 0x7c0, v10
	v_lshlrev_b32_e32 v3, 2, v9
	v_and_or_b32 v7, 0x3e0, v0, v9
	v_lshlrev_b32_e32 v4, 2, v5
	v_or_b32_e32 v6, 32, v5
	v_lshlrev_b32_e32 v11, 1, v7
	v_bfe_u32 v7, v7, 4, 27
	v_lshrrev_b32_e32 v6, 3, v6
	v_add_lshl_u32 v7, v7, v11, 2
	s_waitcnt lgkmcnt(0)
	v_add_co_u32 v1, s0, s0, v3
	v_add_co_ci_u32_e64 v2, null, s1, 0, s0
	s_mov_b32 s0, exec_lo
	v_add_co_u32 v1, vcc_lo, v1, v4
	v_add_co_ci_u32_e64 v2, null, 0, v2, vcc_lo
	s_clause 0x1
	global_load_dword v8, v[1:2], off
	global_load_dword v1, v[1:2], off offset:128
	v_or_b32_e32 v2, v9, v5
	v_lshrrev_b32_e32 v5, 3, v5
	v_lshlrev_b32_e32 v2, 2, v2
	v_add_nc_u32_e32 v5, v5, v2
	v_add_nc_u32_e32 v6, v6, v2
	s_waitcnt vmcnt(1)
	ds_write_b32 v5, v8
	s_waitcnt vmcnt(0)
	ds_write_b32 v6, v1 offset:128
	; wave barrier
	ds_read2_b32 v[1:2], v7 offset1:1
	v_lshrrev_b32_e32 v8, 3, v0
	s_waitcnt lgkmcnt(0)
	s_barrier
	buffer_gl0_inv
	v_and_b32_e32 v11, 0x7c, v8
	v_mov_b32_e32 v8, 0
	v_lshl_add_u32 v11, v0, 2, v11
	v_add_nc_u32_e32 v2, v2, v1
	ds_write_b32 v11, v2
	s_waitcnt lgkmcnt(0)
	s_barrier
	buffer_gl0_inv
	v_cmpx_gt_u32_e32 32, v0
	s_cbranch_execz .LBB1_2
; %bb.1:
	v_and_b32_e32 v10, 0x7fc, v10
	v_lshl_add_u32 v22, v0, 6, v10
	ds_read2_b32 v[10:11], v22 offset1:1
	ds_read2_b32 v[12:13], v22 offset0:2 offset1:3
	ds_read2_b32 v[14:15], v22 offset0:4 offset1:5
	;; [unrolled: 1-line block ×4, first 2 shown]
	s_waitcnt lgkmcnt(4)
	v_add_nc_u32_e32 v11, v11, v10
	s_waitcnt lgkmcnt(3)
	v_add3_u32 v13, v11, v12, v13
	ds_read2_b32 v[11:12], v22 offset0:10 offset1:11
	s_waitcnt lgkmcnt(3)
	v_add3_u32 v15, v13, v14, v15
	ds_read2_b32 v[13:14], v22 offset0:12 offset1:13
	ds_read2_b32 v[20:21], v22 offset0:14 offset1:15
	; wave barrier
	s_waitcnt lgkmcnt(4)
	v_add3_u32 v15, v15, v16, v17
	s_waitcnt lgkmcnt(3)
	v_add3_u32 v15, v15, v18, v19
	;; [unrolled: 2-line block ×3, first 2 shown]
	v_and_b32_e32 v12, 15, v9
	s_waitcnt lgkmcnt(1)
	v_add3_u32 v11, v11, v13, v14
	v_cmp_ne_u32_e32 vcc_lo, 0, v12
	v_bfe_i32 v14, v9, 4, 1
	s_waitcnt lgkmcnt(0)
	v_add3_u32 v11, v11, v20, v21
	v_mov_b32_dpp v13, v11 row_shr:1 row_mask:0xf bank_mask:0xf
	v_cndmask_b32_e32 v13, 0, v13, vcc_lo
	v_cmp_lt_u32_e32 vcc_lo, 1, v12
	v_add_nc_u32_e32 v11, v13, v11
	v_mov_b32_dpp v13, v11 row_shr:2 row_mask:0xf bank_mask:0xf
	v_cndmask_b32_e32 v13, 0, v13, vcc_lo
	v_cmp_lt_u32_e32 vcc_lo, 3, v12
	v_add_nc_u32_e32 v11, v11, v13
	;; [unrolled: 4-line block ×3, first 2 shown]
	v_mov_b32_dpp v13, v11 row_shr:8 row_mask:0xf bank_mask:0xf
	v_cndmask_b32_e32 v12, 0, v13, vcc_lo
	v_add_nc_u32_e32 v13, -1, v9
	v_add_nc_u32_e32 v11, v11, v12
	v_cmp_gt_i32_e32 vcc_lo, 0, v13
	ds_swizzle_b32 v12, v11 offset:swizzle(BROADCAST,32,15)
	v_cndmask_b32_e32 v9, v13, v9, vcc_lo
	v_cmp_eq_u32_e32 vcc_lo, 0, v0
	v_lshlrev_b32_e32 v9, 2, v9
	s_waitcnt lgkmcnt(0)
	v_and_b32_e32 v12, v14, v12
	v_add_nc_u32_e32 v11, v11, v12
	ds_bpermute_b32 v9, v9, v11
	s_waitcnt lgkmcnt(0)
	v_add_nc_u32_e32 v9, v9, v10
	v_cndmask_b32_e32 v2, v9, v2, vcc_lo
	ds_write_b32 v22, v2
	; wave barrier
	ds_read2_b32 v[9:10], v22 offset0:1 offset1:2
	ds_read2_b32 v[11:12], v22 offset0:3 offset1:4
	;; [unrolled: 1-line block ×4, first 2 shown]
	s_waitcnt lgkmcnt(3)
	v_add_nc_u32_e32 v2, v9, v2
	v_add_nc_u32_e32 v17, v10, v2
	ds_read2_b32 v[9:10], v22 offset0:9 offset1:10
	s_waitcnt lgkmcnt(3)
	v_add_nc_u32_e32 v18, v11, v17
	v_add_nc_u32_e32 v19, v12, v18
	ds_read2_b32 v[11:12], v22 offset0:11 offset1:12
	;; [unrolled: 4-line block ×3, first 2 shown]
	ds_read_b32 v23, v22 offset:60
	ds_write2_b32 v22, v2, v17 offset0:1 offset1:2
	ds_write2_b32 v22, v18, v19 offset0:3 offset1:4
	ds_write2_b32 v22, v20, v21 offset0:5 offset1:6
	s_waitcnt lgkmcnt(7)
	v_add_nc_u32_e32 v15, v15, v21
	v_add_nc_u32_e32 v16, v16, v15
	s_waitcnt lgkmcnt(6)
	v_add_nc_u32_e32 v9, v9, v16
	v_add_nc_u32_e32 v10, v10, v9
	;; [unrolled: 3-line block ×4, first 2 shown]
	s_waitcnt lgkmcnt(3)
	v_add_nc_u32_e32 v2, v23, v14
	ds_write2_b32 v22, v15, v16 offset0:7 offset1:8
	ds_write2_b32 v22, v9, v10 offset0:9 offset1:10
	;; [unrolled: 1-line block ×4, first 2 shown]
	ds_write_b32 v22, v2 offset:60
.LBB1_2:
	s_or_b32 exec_lo, exec_lo, s0
	s_mov_b32 s1, exec_lo
	v_cmp_eq_u32_e32 vcc_lo, 0, v0
	s_waitcnt lgkmcnt(0)
	s_barrier
	buffer_gl0_inv
	v_cmpx_ne_u32_e32 0, v0
	s_cbranch_execz .LBB1_4
; %bb.3:
	v_add_nc_u32_e32 v0, -1, v0
	v_lshrrev_b32_e32 v2, 3, v0
	v_and_b32_e32 v2, 0x1ffffffc, v2
	v_lshl_add_u32 v0, v0, 2, v2
	ds_read_b32 v8, v0
.LBB1_4:
	s_or_b32 exec_lo, exec_lo, s1
	v_mov_b32_e32 v0, 0
	s_waitcnt lgkmcnt(0)
	v_add_nc_u32_e32 v1, v8, v1
	ds_read_b32 v0, v0 offset:2104
	s_waitcnt lgkmcnt(0)
	s_barrier
	buffer_gl0_inv
	ds_write2_b32 v7, v8, v1 offset1:1
	; wave barrier
	ds_read_b32 v5, v5
	ds_read_b32 v6, v6 offset:128
	v_add_co_u32 v1, s0, s2, v3
	v_add_co_ci_u32_e64 v2, null, s3, 0, s0
	v_add_co_u32 v1, s0, v1, v4
	v_add_co_ci_u32_e64 v2, null, 0, v2, s0
	s_waitcnt lgkmcnt(1)
	global_store_dword v[1:2], v5, off
	s_waitcnt lgkmcnt(0)
	global_store_dword v[1:2], v6, off offset:128
	s_and_saveexec_b32 s0, vcc_lo
	s_cbranch_execz .LBB1_6
; %bb.5:
	v_mov_b32_e32 v1, 0x1000
	global_store_dword v1, v0, s[2:3]
.LBB1_6:
	s_endpgm
	.section	.rodata,"a",@progbits
	.p2align	6, 0x0
	.amdhsa_kernel _Z20BlockPrefixSumKernelILi512ELi2ELN6hipcub16HIPCUB_304000_NS18BlockScanAlgorithmE1EEvPKiPi
		.amdhsa_group_segment_fixed_size 4224
		.amdhsa_private_segment_fixed_size 0
		.amdhsa_kernarg_size 16
		.amdhsa_user_sgpr_count 6
		.amdhsa_user_sgpr_private_segment_buffer 1
		.amdhsa_user_sgpr_dispatch_ptr 0
		.amdhsa_user_sgpr_queue_ptr 0
		.amdhsa_user_sgpr_kernarg_segment_ptr 1
		.amdhsa_user_sgpr_dispatch_id 0
		.amdhsa_user_sgpr_flat_scratch_init 0
		.amdhsa_user_sgpr_private_segment_size 0
		.amdhsa_wavefront_size32 1
		.amdhsa_uses_dynamic_stack 0
		.amdhsa_system_sgpr_private_segment_wavefront_offset 0
		.amdhsa_system_sgpr_workgroup_id_x 1
		.amdhsa_system_sgpr_workgroup_id_y 0
		.amdhsa_system_sgpr_workgroup_id_z 0
		.amdhsa_system_sgpr_workgroup_info 0
		.amdhsa_system_vgpr_workitem_id 0
		.amdhsa_next_free_vgpr 24
		.amdhsa_next_free_sgpr 6
		.amdhsa_reserve_vcc 1
		.amdhsa_reserve_flat_scratch 0
		.amdhsa_float_round_mode_32 0
		.amdhsa_float_round_mode_16_64 0
		.amdhsa_float_denorm_mode_32 3
		.amdhsa_float_denorm_mode_16_64 3
		.amdhsa_dx10_clamp 1
		.amdhsa_ieee_mode 1
		.amdhsa_fp16_overflow 0
		.amdhsa_workgroup_processor_mode 1
		.amdhsa_memory_ordered 1
		.amdhsa_forward_progress 1
		.amdhsa_shared_vgpr_count 0
		.amdhsa_exception_fp_ieee_invalid_op 0
		.amdhsa_exception_fp_denorm_src 0
		.amdhsa_exception_fp_ieee_div_zero 0
		.amdhsa_exception_fp_ieee_overflow 0
		.amdhsa_exception_fp_ieee_underflow 0
		.amdhsa_exception_fp_ieee_inexact 0
		.amdhsa_exception_int_div_zero 0
	.end_amdhsa_kernel
	.section	.text._Z20BlockPrefixSumKernelILi512ELi2ELN6hipcub16HIPCUB_304000_NS18BlockScanAlgorithmE1EEvPKiPi,"axG",@progbits,_Z20BlockPrefixSumKernelILi512ELi2ELN6hipcub16HIPCUB_304000_NS18BlockScanAlgorithmE1EEvPKiPi,comdat
.Lfunc_end1:
	.size	_Z20BlockPrefixSumKernelILi512ELi2ELN6hipcub16HIPCUB_304000_NS18BlockScanAlgorithmE1EEvPKiPi, .Lfunc_end1-_Z20BlockPrefixSumKernelILi512ELi2ELN6hipcub16HIPCUB_304000_NS18BlockScanAlgorithmE1EEvPKiPi
                                        ; -- End function
	.set _Z20BlockPrefixSumKernelILi512ELi2ELN6hipcub16HIPCUB_304000_NS18BlockScanAlgorithmE1EEvPKiPi.num_vgpr, 24
	.set _Z20BlockPrefixSumKernelILi512ELi2ELN6hipcub16HIPCUB_304000_NS18BlockScanAlgorithmE1EEvPKiPi.num_agpr, 0
	.set _Z20BlockPrefixSumKernelILi512ELi2ELN6hipcub16HIPCUB_304000_NS18BlockScanAlgorithmE1EEvPKiPi.numbered_sgpr, 6
	.set _Z20BlockPrefixSumKernelILi512ELi2ELN6hipcub16HIPCUB_304000_NS18BlockScanAlgorithmE1EEvPKiPi.num_named_barrier, 0
	.set _Z20BlockPrefixSumKernelILi512ELi2ELN6hipcub16HIPCUB_304000_NS18BlockScanAlgorithmE1EEvPKiPi.private_seg_size, 0
	.set _Z20BlockPrefixSumKernelILi512ELi2ELN6hipcub16HIPCUB_304000_NS18BlockScanAlgorithmE1EEvPKiPi.uses_vcc, 1
	.set _Z20BlockPrefixSumKernelILi512ELi2ELN6hipcub16HIPCUB_304000_NS18BlockScanAlgorithmE1EEvPKiPi.uses_flat_scratch, 0
	.set _Z20BlockPrefixSumKernelILi512ELi2ELN6hipcub16HIPCUB_304000_NS18BlockScanAlgorithmE1EEvPKiPi.has_dyn_sized_stack, 0
	.set _Z20BlockPrefixSumKernelILi512ELi2ELN6hipcub16HIPCUB_304000_NS18BlockScanAlgorithmE1EEvPKiPi.has_recursion, 0
	.set _Z20BlockPrefixSumKernelILi512ELi2ELN6hipcub16HIPCUB_304000_NS18BlockScanAlgorithmE1EEvPKiPi.has_indirect_call, 0
	.section	.AMDGPU.csdata,"",@progbits
; Kernel info:
; codeLenInByte = 1032
; TotalNumSgprs: 8
; NumVgprs: 24
; ScratchSize: 0
; MemoryBound: 0
; FloatMode: 240
; IeeeMode: 1
; LDSByteSize: 4224 bytes/workgroup (compile time only)
; SGPRBlocks: 0
; VGPRBlocks: 2
; NumSGPRsForWavesPerEU: 8
; NumVGPRsForWavesPerEU: 24
; Occupancy: 16
; WaveLimiterHint : 1
; COMPUTE_PGM_RSRC2:SCRATCH_EN: 0
; COMPUTE_PGM_RSRC2:USER_SGPR: 6
; COMPUTE_PGM_RSRC2:TRAP_HANDLER: 0
; COMPUTE_PGM_RSRC2:TGID_X_EN: 1
; COMPUTE_PGM_RSRC2:TGID_Y_EN: 0
; COMPUTE_PGM_RSRC2:TGID_Z_EN: 0
; COMPUTE_PGM_RSRC2:TIDIG_COMP_CNT: 0
	.section	.text._Z20BlockPrefixSumKernelILi256ELi4ELN6hipcub16HIPCUB_304000_NS18BlockScanAlgorithmE1EEvPKiPi,"axG",@progbits,_Z20BlockPrefixSumKernelILi256ELi4ELN6hipcub16HIPCUB_304000_NS18BlockScanAlgorithmE1EEvPKiPi,comdat
	.protected	_Z20BlockPrefixSumKernelILi256ELi4ELN6hipcub16HIPCUB_304000_NS18BlockScanAlgorithmE1EEvPKiPi ; -- Begin function _Z20BlockPrefixSumKernelILi256ELi4ELN6hipcub16HIPCUB_304000_NS18BlockScanAlgorithmE1EEvPKiPi
	.globl	_Z20BlockPrefixSumKernelILi256ELi4ELN6hipcub16HIPCUB_304000_NS18BlockScanAlgorithmE1EEvPKiPi
	.p2align	8
	.type	_Z20BlockPrefixSumKernelILi256ELi4ELN6hipcub16HIPCUB_304000_NS18BlockScanAlgorithmE1EEvPKiPi,@function
_Z20BlockPrefixSumKernelILi256ELi4ELN6hipcub16HIPCUB_304000_NS18BlockScanAlgorithmE1EEvPKiPi: ; @_Z20BlockPrefixSumKernelILi256ELi4ELN6hipcub16HIPCUB_304000_NS18BlockScanAlgorithmE1EEvPKiPi
; %bb.0:
	s_load_dwordx4 s[0:3], s[4:5], 0x0
	v_lshlrev_b32_e32 v14, 2, v0
	v_mbcnt_lo_u32_b32 v13, -1, 0
	v_and_b32_e32 v3, 0xf80, v14
	v_lshlrev_b32_e32 v5, 2, v13
	v_lshlrev_b32_e32 v6, 2, v3
	v_or_b32_e32 v7, v13, v3
	v_or_b32_e32 v8, 32, v3
	;; [unrolled: 1-line block ×4, first 2 shown]
	v_lshrrev_b32_e32 v3, 3, v3
	v_lshlrev_b32_e32 v16, 2, v7
	v_lshrrev_b32_e32 v8, 3, v8
	v_lshrrev_b32_e32 v9, 3, v9
	s_waitcnt lgkmcnt(0)
	v_add_co_u32 v1, s0, s0, v5
	v_add_co_ci_u32_e64 v2, null, s1, 0, s0
	v_lshrrev_b32_e32 v10, 3, v10
	v_add_co_u32 v1, vcc_lo, v1, v6
	v_add_co_ci_u32_e64 v2, null, 0, v2, vcc_lo
	v_add_nc_u32_e32 v7, v3, v16
	v_add_nc_u32_e32 v8, v8, v16
	;; [unrolled: 1-line block ×3, first 2 shown]
	s_clause 0x3
	global_load_dword v4, v[1:2], off
	global_load_dword v12, v[1:2], off offset:128
	global_load_dword v15, v[1:2], off offset:256
	;; [unrolled: 1-line block ×3, first 2 shown]
	v_and_or_b32 v2, 0x3e0, v0, v13
	v_add_nc_u32_e32 v10, v10, v16
	s_mov_b32 s0, exec_lo
	s_waitcnt vmcnt(3)
	ds_write_b32 v7, v4
	s_waitcnt vmcnt(2)
	ds_write_b32 v8, v12 offset:128
	s_waitcnt vmcnt(1)
	ds_write_b32 v9, v15 offset:256
	;; [unrolled: 2-line block ×3, first 2 shown]
	v_lshlrev_b32_e32 v11, 2, v2
	v_bfe_u32 v2, v2, 3, 27
	; wave barrier
	v_lshrrev_b32_e32 v12, 3, v0
	v_add_lshl_u32 v11, v2, v11, 2
	ds_read2_b32 v[3:4], v11 offset1:1
	ds_read2_b32 v[1:2], v11 offset0:2 offset1:3
	v_and_b32_e32 v15, 0x7c, v12
	v_mov_b32_e32 v12, 0
	s_waitcnt lgkmcnt(0)
	s_barrier
	buffer_gl0_inv
	v_add_nc_u32_e32 v14, v15, v14
	v_add_nc_u32_e32 v16, v4, v3
	v_add3_u32 v2, v16, v1, v2
	ds_write_b32 v14, v2
	s_waitcnt lgkmcnt(0)
	s_barrier
	buffer_gl0_inv
	v_cmpx_gt_u32_e32 32, v0
	s_cbranch_execz .LBB2_2
; %bb.1:
	v_and_b32_e32 v14, 0x3fc, v0
	v_lshl_add_u32 v22, v0, 5, v14
	ds_read2_b32 v[14:15], v22 offset1:1
	ds_read2_b32 v[16:17], v22 offset0:2 offset1:3
	ds_read2_b32 v[18:19], v22 offset0:4 offset1:5
	;; [unrolled: 1-line block ×3, first 2 shown]
	; wave barrier
	s_waitcnt lgkmcnt(3)
	v_add_nc_u32_e32 v15, v15, v14
	s_waitcnt lgkmcnt(2)
	v_add3_u32 v15, v15, v16, v17
	v_and_b32_e32 v16, 15, v13
	s_waitcnt lgkmcnt(1)
	v_add3_u32 v15, v15, v18, v19
	v_cmp_ne_u32_e32 vcc_lo, 0, v16
	v_bfe_i32 v18, v13, 4, 1
	s_waitcnt lgkmcnt(0)
	v_add3_u32 v15, v15, v20, v21
	v_mov_b32_dpp v17, v15 row_shr:1 row_mask:0xf bank_mask:0xf
	v_cndmask_b32_e32 v17, 0, v17, vcc_lo
	v_cmp_lt_u32_e32 vcc_lo, 1, v16
	v_add_nc_u32_e32 v15, v17, v15
	v_mov_b32_dpp v17, v15 row_shr:2 row_mask:0xf bank_mask:0xf
	v_cndmask_b32_e32 v17, 0, v17, vcc_lo
	v_cmp_lt_u32_e32 vcc_lo, 3, v16
	v_add_nc_u32_e32 v15, v15, v17
	;; [unrolled: 4-line block ×3, first 2 shown]
	v_mov_b32_dpp v17, v15 row_shr:8 row_mask:0xf bank_mask:0xf
	v_cndmask_b32_e32 v16, 0, v17, vcc_lo
	v_add_nc_u32_e32 v17, -1, v13
	v_add_nc_u32_e32 v15, v15, v16
	v_cmp_gt_i32_e32 vcc_lo, 0, v17
	ds_swizzle_b32 v16, v15 offset:swizzle(BROADCAST,32,15)
	v_cndmask_b32_e32 v13, v17, v13, vcc_lo
	v_cmp_eq_u32_e32 vcc_lo, 0, v0
	v_lshlrev_b32_e32 v13, 2, v13
	s_waitcnt lgkmcnt(0)
	v_and_b32_e32 v16, v18, v16
	v_add_nc_u32_e32 v15, v15, v16
	ds_bpermute_b32 v13, v13, v15
	s_waitcnt lgkmcnt(0)
	v_add_nc_u32_e32 v13, v13, v14
	v_cndmask_b32_e32 v2, v13, v2, vcc_lo
	ds_write_b32 v22, v2
	; wave barrier
	ds_read2_b32 v[13:14], v22 offset0:1 offset1:2
	ds_read2_b32 v[15:16], v22 offset0:3 offset1:4
	;; [unrolled: 1-line block ×3, first 2 shown]
	ds_read_b32 v19, v22 offset:28
	s_waitcnt lgkmcnt(3)
	v_add_nc_u32_e32 v2, v13, v2
	v_add_nc_u32_e32 v13, v14, v2
	s_waitcnt lgkmcnt(2)
	v_add_nc_u32_e32 v14, v15, v13
	v_add_nc_u32_e32 v15, v16, v14
	;; [unrolled: 3-line block ×3, first 2 shown]
	s_waitcnt lgkmcnt(0)
	v_add_nc_u32_e32 v18, v19, v17
	ds_write2_b32 v22, v2, v13 offset0:1 offset1:2
	ds_write2_b32 v22, v14, v15 offset0:3 offset1:4
	;; [unrolled: 1-line block ×3, first 2 shown]
	ds_write_b32 v22, v18 offset:28
.LBB2_2:
	s_or_b32 exec_lo, exec_lo, s0
	s_mov_b32 s1, exec_lo
	v_cmp_eq_u32_e32 vcc_lo, 0, v0
	s_waitcnt lgkmcnt(0)
	s_barrier
	buffer_gl0_inv
	v_cmpx_ne_u32_e32 0, v0
	s_cbranch_execz .LBB2_4
; %bb.3:
	v_add_nc_u32_e32 v0, -1, v0
	v_lshrrev_b32_e32 v2, 3, v0
	v_and_b32_e32 v2, 0x1ffffffc, v2
	v_lshl_add_u32 v0, v0, 2, v2
	ds_read_b32 v12, v0
.LBB2_4:
	s_or_b32 exec_lo, exec_lo, s1
	s_waitcnt lgkmcnt(0)
	v_add_nc_u32_e32 v2, v12, v3
	v_mov_b32_e32 v0, 0
	v_add_nc_u32_e32 v3, v2, v4
	ds_read_b32 v0, v0 offset:1048
	s_waitcnt lgkmcnt(0)
	s_barrier
	buffer_gl0_inv
	v_add_nc_u32_e32 v1, v3, v1
	ds_write2_b32 v11, v12, v2 offset1:1
	ds_write2_b32 v11, v3, v1 offset0:2 offset1:3
	; wave barrier
	ds_read_b32 v3, v7
	ds_read_b32 v4, v8 offset:128
	ds_read_b32 v7, v9 offset:256
	;; [unrolled: 1-line block ×3, first 2 shown]
	v_add_co_u32 v1, s0, s2, v5
	v_add_co_ci_u32_e64 v2, null, s3, 0, s0
	v_add_co_u32 v1, s0, v1, v6
	v_add_co_ci_u32_e64 v2, null, 0, v2, s0
	s_waitcnt lgkmcnt(3)
	global_store_dword v[1:2], v3, off
	s_waitcnt lgkmcnt(2)
	global_store_dword v[1:2], v4, off offset:128
	s_waitcnt lgkmcnt(1)
	global_store_dword v[1:2], v7, off offset:256
	s_waitcnt lgkmcnt(0)
	global_store_dword v[1:2], v8, off offset:384
	s_and_saveexec_b32 s0, vcc_lo
	s_cbranch_execz .LBB2_6
; %bb.5:
	v_mov_b32_e32 v1, 0x1000
	global_store_dword v1, v0, s[2:3]
.LBB2_6:
	s_endpgm
	.section	.rodata,"a",@progbits
	.p2align	6, 0x0
	.amdhsa_kernel _Z20BlockPrefixSumKernelILi256ELi4ELN6hipcub16HIPCUB_304000_NS18BlockScanAlgorithmE1EEvPKiPi
		.amdhsa_group_segment_fixed_size 4224
		.amdhsa_private_segment_fixed_size 0
		.amdhsa_kernarg_size 16
		.amdhsa_user_sgpr_count 6
		.amdhsa_user_sgpr_private_segment_buffer 1
		.amdhsa_user_sgpr_dispatch_ptr 0
		.amdhsa_user_sgpr_queue_ptr 0
		.amdhsa_user_sgpr_kernarg_segment_ptr 1
		.amdhsa_user_sgpr_dispatch_id 0
		.amdhsa_user_sgpr_flat_scratch_init 0
		.amdhsa_user_sgpr_private_segment_size 0
		.amdhsa_wavefront_size32 1
		.amdhsa_uses_dynamic_stack 0
		.amdhsa_system_sgpr_private_segment_wavefront_offset 0
		.amdhsa_system_sgpr_workgroup_id_x 1
		.amdhsa_system_sgpr_workgroup_id_y 0
		.amdhsa_system_sgpr_workgroup_id_z 0
		.amdhsa_system_sgpr_workgroup_info 0
		.amdhsa_system_vgpr_workitem_id 0
		.amdhsa_next_free_vgpr 23
		.amdhsa_next_free_sgpr 6
		.amdhsa_reserve_vcc 1
		.amdhsa_reserve_flat_scratch 0
		.amdhsa_float_round_mode_32 0
		.amdhsa_float_round_mode_16_64 0
		.amdhsa_float_denorm_mode_32 3
		.amdhsa_float_denorm_mode_16_64 3
		.amdhsa_dx10_clamp 1
		.amdhsa_ieee_mode 1
		.amdhsa_fp16_overflow 0
		.amdhsa_workgroup_processor_mode 1
		.amdhsa_memory_ordered 1
		.amdhsa_forward_progress 1
		.amdhsa_shared_vgpr_count 0
		.amdhsa_exception_fp_ieee_invalid_op 0
		.amdhsa_exception_fp_denorm_src 0
		.amdhsa_exception_fp_ieee_div_zero 0
		.amdhsa_exception_fp_ieee_overflow 0
		.amdhsa_exception_fp_ieee_underflow 0
		.amdhsa_exception_fp_ieee_inexact 0
		.amdhsa_exception_int_div_zero 0
	.end_amdhsa_kernel
	.section	.text._Z20BlockPrefixSumKernelILi256ELi4ELN6hipcub16HIPCUB_304000_NS18BlockScanAlgorithmE1EEvPKiPi,"axG",@progbits,_Z20BlockPrefixSumKernelILi256ELi4ELN6hipcub16HIPCUB_304000_NS18BlockScanAlgorithmE1EEvPKiPi,comdat
.Lfunc_end2:
	.size	_Z20BlockPrefixSumKernelILi256ELi4ELN6hipcub16HIPCUB_304000_NS18BlockScanAlgorithmE1EEvPKiPi, .Lfunc_end2-_Z20BlockPrefixSumKernelILi256ELi4ELN6hipcub16HIPCUB_304000_NS18BlockScanAlgorithmE1EEvPKiPi
                                        ; -- End function
	.set _Z20BlockPrefixSumKernelILi256ELi4ELN6hipcub16HIPCUB_304000_NS18BlockScanAlgorithmE1EEvPKiPi.num_vgpr, 23
	.set _Z20BlockPrefixSumKernelILi256ELi4ELN6hipcub16HIPCUB_304000_NS18BlockScanAlgorithmE1EEvPKiPi.num_agpr, 0
	.set _Z20BlockPrefixSumKernelILi256ELi4ELN6hipcub16HIPCUB_304000_NS18BlockScanAlgorithmE1EEvPKiPi.numbered_sgpr, 6
	.set _Z20BlockPrefixSumKernelILi256ELi4ELN6hipcub16HIPCUB_304000_NS18BlockScanAlgorithmE1EEvPKiPi.num_named_barrier, 0
	.set _Z20BlockPrefixSumKernelILi256ELi4ELN6hipcub16HIPCUB_304000_NS18BlockScanAlgorithmE1EEvPKiPi.private_seg_size, 0
	.set _Z20BlockPrefixSumKernelILi256ELi4ELN6hipcub16HIPCUB_304000_NS18BlockScanAlgorithmE1EEvPKiPi.uses_vcc, 1
	.set _Z20BlockPrefixSumKernelILi256ELi4ELN6hipcub16HIPCUB_304000_NS18BlockScanAlgorithmE1EEvPKiPi.uses_flat_scratch, 0
	.set _Z20BlockPrefixSumKernelILi256ELi4ELN6hipcub16HIPCUB_304000_NS18BlockScanAlgorithmE1EEvPKiPi.has_dyn_sized_stack, 0
	.set _Z20BlockPrefixSumKernelILi256ELi4ELN6hipcub16HIPCUB_304000_NS18BlockScanAlgorithmE1EEvPKiPi.has_recursion, 0
	.set _Z20BlockPrefixSumKernelILi256ELi4ELN6hipcub16HIPCUB_304000_NS18BlockScanAlgorithmE1EEvPKiPi.has_indirect_call, 0
	.section	.AMDGPU.csdata,"",@progbits
; Kernel info:
; codeLenInByte = 976
; TotalNumSgprs: 8
; NumVgprs: 23
; ScratchSize: 0
; MemoryBound: 0
; FloatMode: 240
; IeeeMode: 1
; LDSByteSize: 4224 bytes/workgroup (compile time only)
; SGPRBlocks: 0
; VGPRBlocks: 2
; NumSGPRsForWavesPerEU: 8
; NumVGPRsForWavesPerEU: 23
; Occupancy: 16
; WaveLimiterHint : 1
; COMPUTE_PGM_RSRC2:SCRATCH_EN: 0
; COMPUTE_PGM_RSRC2:USER_SGPR: 6
; COMPUTE_PGM_RSRC2:TRAP_HANDLER: 0
; COMPUTE_PGM_RSRC2:TGID_X_EN: 1
; COMPUTE_PGM_RSRC2:TGID_Y_EN: 0
; COMPUTE_PGM_RSRC2:TGID_Z_EN: 0
; COMPUTE_PGM_RSRC2:TIDIG_COMP_CNT: 0
	.section	.text._Z20BlockPrefixSumKernelILi128ELi8ELN6hipcub16HIPCUB_304000_NS18BlockScanAlgorithmE1EEvPKiPi,"axG",@progbits,_Z20BlockPrefixSumKernelILi128ELi8ELN6hipcub16HIPCUB_304000_NS18BlockScanAlgorithmE1EEvPKiPi,comdat
	.protected	_Z20BlockPrefixSumKernelILi128ELi8ELN6hipcub16HIPCUB_304000_NS18BlockScanAlgorithmE1EEvPKiPi ; -- Begin function _Z20BlockPrefixSumKernelILi128ELi8ELN6hipcub16HIPCUB_304000_NS18BlockScanAlgorithmE1EEvPKiPi
	.globl	_Z20BlockPrefixSumKernelILi128ELi8ELN6hipcub16HIPCUB_304000_NS18BlockScanAlgorithmE1EEvPKiPi
	.p2align	8
	.type	_Z20BlockPrefixSumKernelILi128ELi8ELN6hipcub16HIPCUB_304000_NS18BlockScanAlgorithmE1EEvPKiPi,@function
_Z20BlockPrefixSumKernelILi128ELi8ELN6hipcub16HIPCUB_304000_NS18BlockScanAlgorithmE1EEvPKiPi: ; @_Z20BlockPrefixSumKernelILi128ELi8ELN6hipcub16HIPCUB_304000_NS18BlockScanAlgorithmE1EEvPKiPi
; %bb.0:
	s_load_dwordx4 s[0:3], s[4:5], 0x0
	v_lshlrev_b32_e32 v1, 3, v0
	v_mbcnt_lo_u32_b32 v12, -1, 0
	v_and_b32_e32 v3, 0x1f00, v1
	v_lshlrev_b32_e32 v9, 2, v12
	v_lshlrev_b32_e32 v10, 2, v3
	v_or_b32_e32 v13, v12, v3
	v_or_b32_e32 v15, 32, v3
	v_or_b32_e32 v16, 64, v3
	v_or_b32_e32 v17, 0x60, v3
	v_or_b32_e32 v18, 0x80, v3
	v_lshrrev_b32_e32 v14, 3, v3
	v_or_b32_e32 v19, 0xa0, v3
	v_or_b32_e32 v20, 0xc0, v3
	s_waitcnt lgkmcnt(0)
	v_add_co_u32 v1, s0, s0, v9
	v_add_co_ci_u32_e64 v2, null, s1, 0, s0
	v_or_b32_e32 v3, 0xe0, v3
	v_add_co_u32 v1, vcc_lo, v1, v10
	v_add_co_ci_u32_e64 v2, null, 0, v2, vcc_lo
	v_lshrrev_b32_e32 v15, 3, v15
	v_lshrrev_b32_e32 v16, 3, v16
	;; [unrolled: 1-line block ×3, first 2 shown]
	s_clause 0x7
	global_load_dword v4, v[1:2], off
	global_load_dword v5, v[1:2], off offset:128
	global_load_dword v6, v[1:2], off offset:256
	;; [unrolled: 1-line block ×7, first 2 shown]
	v_and_or_b32 v2, 0x3e0, v0, v12
	v_lshrrev_b32_e32 v18, 3, v18
	v_lshrrev_b32_e32 v19, 3, v19
	v_lshrrev_b32_e32 v20, 3, v20
	v_lshrrev_b32_e32 v3, 3, v3
	v_lshlrev_b32_e32 v11, 3, v2
	v_bfe_u32 v2, v2, 2, 27
	s_mov_b32 s0, exec_lo
	v_add_lshl_u32 v11, v2, v11, 2
	v_lshlrev_b32_e32 v2, 2, v13
	v_add_nc_u32_e32 v13, v14, v2
	v_add_nc_u32_e32 v14, v15, v2
	;; [unrolled: 1-line block ×8, first 2 shown]
	s_waitcnt vmcnt(7)
	ds_write_b32 v13, v4
	s_waitcnt vmcnt(6)
	ds_write_b32 v14, v5 offset:128
	s_waitcnt vmcnt(5)
	ds_write_b32 v15, v6 offset:256
	;; [unrolled: 2-line block ×7, first 2 shown]
	; wave barrier
	ds_read2_b32 v[7:8], v11 offset1:1
	ds_read2_b32 v[5:6], v11 offset0:2 offset1:3
	ds_read2_b32 v[3:4], v11 offset0:4 offset1:5
	;; [unrolled: 1-line block ×3, first 2 shown]
	v_lshrrev_b32_e32 v22, 3, v0
	s_waitcnt lgkmcnt(0)
	s_barrier
	buffer_gl0_inv
	v_and_b32_e32 v22, 0x7c, v22
	v_lshl_add_u32 v22, v0, 2, v22
	v_add_nc_u32_e32 v21, v8, v7
	v_add3_u32 v21, v21, v5, v6
	v_add3_u32 v23, v21, v3, v4
	v_mov_b32_e32 v21, 0
	v_add3_u32 v2, v23, v1, v2
	ds_write_b32 v22, v2
	s_waitcnt lgkmcnt(0)
	s_barrier
	buffer_gl0_inv
	v_cmpx_gt_u32_e32 32, v0
	s_cbranch_execz .LBB3_2
; %bb.1:
	v_lshrrev_b32_e32 v22, 1, v0
	v_bfe_i32 v27, v12, 4, 1
	v_and_b32_e32 v22, 0x1fc, v22
	v_lshl_add_u32 v26, v0, 4, v22
	ds_read2_b32 v[22:23], v26 offset1:1
	ds_read2_b32 v[24:25], v26 offset0:2 offset1:3
	; wave barrier
	s_waitcnt lgkmcnt(1)
	v_add_nc_u32_e32 v23, v23, v22
	s_waitcnt lgkmcnt(0)
	v_add3_u32 v23, v23, v24, v25
	v_and_b32_e32 v24, 15, v12
	v_mov_b32_dpp v25, v23 row_shr:1 row_mask:0xf bank_mask:0xf
	v_cmp_ne_u32_e32 vcc_lo, 0, v24
	v_cndmask_b32_e32 v25, 0, v25, vcc_lo
	v_cmp_lt_u32_e32 vcc_lo, 1, v24
	v_add_nc_u32_e32 v23, v25, v23
	v_mov_b32_dpp v25, v23 row_shr:2 row_mask:0xf bank_mask:0xf
	v_cndmask_b32_e32 v25, 0, v25, vcc_lo
	v_cmp_lt_u32_e32 vcc_lo, 3, v24
	v_add_nc_u32_e32 v23, v23, v25
	v_mov_b32_dpp v25, v23 row_shr:4 row_mask:0xf bank_mask:0xf
	;; [unrolled: 4-line block ×3, first 2 shown]
	v_cndmask_b32_e32 v24, 0, v25, vcc_lo
	v_add_nc_u32_e32 v25, -1, v12
	v_add_nc_u32_e32 v23, v23, v24
	v_cmp_gt_i32_e32 vcc_lo, 0, v25
	ds_swizzle_b32 v24, v23 offset:swizzle(BROADCAST,32,15)
	v_cndmask_b32_e32 v12, v25, v12, vcc_lo
	v_cmp_eq_u32_e32 vcc_lo, 0, v0
	v_lshlrev_b32_e32 v12, 2, v12
	s_waitcnt lgkmcnt(0)
	v_and_b32_e32 v24, v27, v24
	v_add_nc_u32_e32 v23, v23, v24
	ds_bpermute_b32 v12, v12, v23
	s_waitcnt lgkmcnt(0)
	v_add_nc_u32_e32 v12, v12, v22
	v_cndmask_b32_e32 v2, v12, v2, vcc_lo
	ds_write_b32 v26, v2
	; wave barrier
	ds_read2_b32 v[22:23], v26 offset0:1 offset1:2
	ds_read_b32 v12, v26 offset:12
	s_waitcnt lgkmcnt(1)
	v_add_nc_u32_e32 v2, v22, v2
	v_add_nc_u32_e32 v22, v23, v2
	s_waitcnt lgkmcnt(0)
	v_add_nc_u32_e32 v12, v12, v22
	ds_write2_b32 v26, v2, v22 offset0:1 offset1:2
	ds_write_b32 v26, v12 offset:12
.LBB3_2:
	s_or_b32 exec_lo, exec_lo, s0
	s_mov_b32 s1, exec_lo
	v_cmp_eq_u32_e32 vcc_lo, 0, v0
	s_waitcnt lgkmcnt(0)
	s_barrier
	buffer_gl0_inv
	v_cmpx_ne_u32_e32 0, v0
	s_cbranch_execz .LBB3_4
; %bb.3:
	v_add_nc_u32_e32 v0, -1, v0
	v_lshrrev_b32_e32 v2, 3, v0
	v_and_b32_e32 v2, 0x1ffffffc, v2
	v_lshl_add_u32 v0, v0, 2, v2
	ds_read_b32 v21, v0
.LBB3_4:
	s_or_b32 exec_lo, exec_lo, s1
	s_waitcnt lgkmcnt(0)
	v_add_nc_u32_e32 v2, v21, v7
	v_mov_b32_e32 v0, 0
	v_add_nc_u32_e32 v7, v2, v8
	ds_read_b32 v0, v0 offset:520
	s_waitcnt lgkmcnt(0)
	s_barrier
	buffer_gl0_inv
	v_add_nc_u32_e32 v5, v7, v5
	v_add_nc_u32_e32 v6, v5, v6
	;; [unrolled: 1-line block ×5, first 2 shown]
	ds_write2_b32 v11, v21, v2 offset1:1
	ds_write2_b32 v11, v7, v5 offset0:2 offset1:3
	ds_write2_b32 v11, v6, v3 offset0:4 offset1:5
	;; [unrolled: 1-line block ×3, first 2 shown]
	; wave barrier
	ds_read_b32 v3, v13
	ds_read_b32 v4, v14 offset:128
	ds_read_b32 v5, v15 offset:256
	;; [unrolled: 1-line block ×7, first 2 shown]
	v_add_co_u32 v1, s0, s2, v9
	v_add_co_ci_u32_e64 v2, null, s3, 0, s0
	v_add_co_u32 v1, s0, v1, v10
	v_add_co_ci_u32_e64 v2, null, 0, v2, s0
	s_waitcnt lgkmcnt(7)
	global_store_dword v[1:2], v3, off
	s_waitcnt lgkmcnt(6)
	global_store_dword v[1:2], v4, off offset:128
	s_waitcnt lgkmcnt(5)
	global_store_dword v[1:2], v5, off offset:256
	;; [unrolled: 2-line block ×7, first 2 shown]
	s_and_saveexec_b32 s0, vcc_lo
	s_cbranch_execz .LBB3_6
; %bb.5:
	v_mov_b32_e32 v1, 0x1000
	global_store_dword v1, v0, s[2:3]
.LBB3_6:
	s_endpgm
	.section	.rodata,"a",@progbits
	.p2align	6, 0x0
	.amdhsa_kernel _Z20BlockPrefixSumKernelILi128ELi8ELN6hipcub16HIPCUB_304000_NS18BlockScanAlgorithmE1EEvPKiPi
		.amdhsa_group_segment_fixed_size 4224
		.amdhsa_private_segment_fixed_size 0
		.amdhsa_kernarg_size 16
		.amdhsa_user_sgpr_count 6
		.amdhsa_user_sgpr_private_segment_buffer 1
		.amdhsa_user_sgpr_dispatch_ptr 0
		.amdhsa_user_sgpr_queue_ptr 0
		.amdhsa_user_sgpr_kernarg_segment_ptr 1
		.amdhsa_user_sgpr_dispatch_id 0
		.amdhsa_user_sgpr_flat_scratch_init 0
		.amdhsa_user_sgpr_private_segment_size 0
		.amdhsa_wavefront_size32 1
		.amdhsa_uses_dynamic_stack 0
		.amdhsa_system_sgpr_private_segment_wavefront_offset 0
		.amdhsa_system_sgpr_workgroup_id_x 1
		.amdhsa_system_sgpr_workgroup_id_y 0
		.amdhsa_system_sgpr_workgroup_id_z 0
		.amdhsa_system_sgpr_workgroup_info 0
		.amdhsa_system_vgpr_workitem_id 0
		.amdhsa_next_free_vgpr 28
		.amdhsa_next_free_sgpr 6
		.amdhsa_reserve_vcc 1
		.amdhsa_reserve_flat_scratch 0
		.amdhsa_float_round_mode_32 0
		.amdhsa_float_round_mode_16_64 0
		.amdhsa_float_denorm_mode_32 3
		.amdhsa_float_denorm_mode_16_64 3
		.amdhsa_dx10_clamp 1
		.amdhsa_ieee_mode 1
		.amdhsa_fp16_overflow 0
		.amdhsa_workgroup_processor_mode 1
		.amdhsa_memory_ordered 1
		.amdhsa_forward_progress 1
		.amdhsa_shared_vgpr_count 0
		.amdhsa_exception_fp_ieee_invalid_op 0
		.amdhsa_exception_fp_denorm_src 0
		.amdhsa_exception_fp_ieee_div_zero 0
		.amdhsa_exception_fp_ieee_overflow 0
		.amdhsa_exception_fp_ieee_underflow 0
		.amdhsa_exception_fp_ieee_inexact 0
		.amdhsa_exception_int_div_zero 0
	.end_amdhsa_kernel
	.section	.text._Z20BlockPrefixSumKernelILi128ELi8ELN6hipcub16HIPCUB_304000_NS18BlockScanAlgorithmE1EEvPKiPi,"axG",@progbits,_Z20BlockPrefixSumKernelILi128ELi8ELN6hipcub16HIPCUB_304000_NS18BlockScanAlgorithmE1EEvPKiPi,comdat
.Lfunc_end3:
	.size	_Z20BlockPrefixSumKernelILi128ELi8ELN6hipcub16HIPCUB_304000_NS18BlockScanAlgorithmE1EEvPKiPi, .Lfunc_end3-_Z20BlockPrefixSumKernelILi128ELi8ELN6hipcub16HIPCUB_304000_NS18BlockScanAlgorithmE1EEvPKiPi
                                        ; -- End function
	.set _Z20BlockPrefixSumKernelILi128ELi8ELN6hipcub16HIPCUB_304000_NS18BlockScanAlgorithmE1EEvPKiPi.num_vgpr, 28
	.set _Z20BlockPrefixSumKernelILi128ELi8ELN6hipcub16HIPCUB_304000_NS18BlockScanAlgorithmE1EEvPKiPi.num_agpr, 0
	.set _Z20BlockPrefixSumKernelILi128ELi8ELN6hipcub16HIPCUB_304000_NS18BlockScanAlgorithmE1EEvPKiPi.numbered_sgpr, 6
	.set _Z20BlockPrefixSumKernelILi128ELi8ELN6hipcub16HIPCUB_304000_NS18BlockScanAlgorithmE1EEvPKiPi.num_named_barrier, 0
	.set _Z20BlockPrefixSumKernelILi128ELi8ELN6hipcub16HIPCUB_304000_NS18BlockScanAlgorithmE1EEvPKiPi.private_seg_size, 0
	.set _Z20BlockPrefixSumKernelILi128ELi8ELN6hipcub16HIPCUB_304000_NS18BlockScanAlgorithmE1EEvPKiPi.uses_vcc, 1
	.set _Z20BlockPrefixSumKernelILi128ELi8ELN6hipcub16HIPCUB_304000_NS18BlockScanAlgorithmE1EEvPKiPi.uses_flat_scratch, 0
	.set _Z20BlockPrefixSumKernelILi128ELi8ELN6hipcub16HIPCUB_304000_NS18BlockScanAlgorithmE1EEvPKiPi.has_dyn_sized_stack, 0
	.set _Z20BlockPrefixSumKernelILi128ELi8ELN6hipcub16HIPCUB_304000_NS18BlockScanAlgorithmE1EEvPKiPi.has_recursion, 0
	.set _Z20BlockPrefixSumKernelILi128ELi8ELN6hipcub16HIPCUB_304000_NS18BlockScanAlgorithmE1EEvPKiPi.has_indirect_call, 0
	.section	.AMDGPU.csdata,"",@progbits
; Kernel info:
; codeLenInByte = 1176
; TotalNumSgprs: 8
; NumVgprs: 28
; ScratchSize: 0
; MemoryBound: 0
; FloatMode: 240
; IeeeMode: 1
; LDSByteSize: 4224 bytes/workgroup (compile time only)
; SGPRBlocks: 0
; VGPRBlocks: 3
; NumSGPRsForWavesPerEU: 8
; NumVGPRsForWavesPerEU: 28
; Occupancy: 16
; WaveLimiterHint : 1
; COMPUTE_PGM_RSRC2:SCRATCH_EN: 0
; COMPUTE_PGM_RSRC2:USER_SGPR: 6
; COMPUTE_PGM_RSRC2:TRAP_HANDLER: 0
; COMPUTE_PGM_RSRC2:TGID_X_EN: 1
; COMPUTE_PGM_RSRC2:TGID_Y_EN: 0
; COMPUTE_PGM_RSRC2:TGID_Z_EN: 0
; COMPUTE_PGM_RSRC2:TIDIG_COMP_CNT: 0
	.section	.text._Z20BlockPrefixSumKernelILi64ELi16ELN6hipcub16HIPCUB_304000_NS18BlockScanAlgorithmE1EEvPKiPi,"axG",@progbits,_Z20BlockPrefixSumKernelILi64ELi16ELN6hipcub16HIPCUB_304000_NS18BlockScanAlgorithmE1EEvPKiPi,comdat
	.protected	_Z20BlockPrefixSumKernelILi64ELi16ELN6hipcub16HIPCUB_304000_NS18BlockScanAlgorithmE1EEvPKiPi ; -- Begin function _Z20BlockPrefixSumKernelILi64ELi16ELN6hipcub16HIPCUB_304000_NS18BlockScanAlgorithmE1EEvPKiPi
	.globl	_Z20BlockPrefixSumKernelILi64ELi16ELN6hipcub16HIPCUB_304000_NS18BlockScanAlgorithmE1EEvPKiPi
	.p2align	8
	.type	_Z20BlockPrefixSumKernelILi64ELi16ELN6hipcub16HIPCUB_304000_NS18BlockScanAlgorithmE1EEvPKiPi,@function
_Z20BlockPrefixSumKernelILi64ELi16ELN6hipcub16HIPCUB_304000_NS18BlockScanAlgorithmE1EEvPKiPi: ; @_Z20BlockPrefixSumKernelILi64ELi16ELN6hipcub16HIPCUB_304000_NS18BlockScanAlgorithmE1EEvPKiPi
; %bb.0:
	s_load_dwordx4 s[0:3], s[4:5], 0x0
	v_lshlrev_b32_e32 v1, 4, v0
	v_mbcnt_lo_u32_b32 v19, -1, 0
	v_and_b32_e32 v3, 0x3e00, v1
	v_lshlrev_b32_e32 v18, 2, v19
	v_lshlrev_b32_e32 v17, 2, v3
	v_or_b32_e32 v21, v19, v3
	v_or_b32_e32 v23, 32, v3
	;; [unrolled: 1-line block ×5, first 2 shown]
	v_lshrrev_b32_e32 v22, 3, v3
	v_or_b32_e32 v27, 0xa0, v3
	v_or_b32_e32 v28, 0xc0, v3
	s_waitcnt lgkmcnt(0)
	v_add_co_u32 v1, s0, s0, v18
	v_add_co_ci_u32_e64 v2, null, s1, 0, s0
	v_or_b32_e32 v29, 0xe0, v3
	v_add_co_u32 v1, vcc_lo, v1, v17
	v_add_co_ci_u32_e64 v2, null, 0, v2, vcc_lo
	v_or_b32_e32 v30, 0x100, v3
	v_or_b32_e32 v31, 0x120, v3
	;; [unrolled: 1-line block ×3, first 2 shown]
	s_clause 0xf
	global_load_dword v4, v[1:2], off
	global_load_dword v5, v[1:2], off offset:128
	global_load_dword v6, v[1:2], off offset:256
	;; [unrolled: 1-line block ×15, first 2 shown]
	v_and_or_b32 v2, 0x3e0, v0, v19
	v_or_b32_e32 v33, 0x160, v3
	v_or_b32_e32 v34, 0x180, v3
	;; [unrolled: 1-line block ×4, first 2 shown]
	v_lshlrev_b32_e32 v20, 4, v2
	v_bfe_u32 v2, v2, 1, 27
	v_or_b32_e32 v3, 0x1e0, v3
	v_lshrrev_b32_e32 v23, 3, v23
	v_lshrrev_b32_e32 v24, 3, v24
	;; [unrolled: 1-line block ×3, first 2 shown]
	v_add_lshl_u32 v20, v2, v20, 2
	v_lshlrev_b32_e32 v2, 2, v21
	v_lshrrev_b32_e32 v26, 3, v26
	v_lshrrev_b32_e32 v27, 3, v27
	;; [unrolled: 1-line block ×12, first 2 shown]
	v_add_nc_u32_e32 v21, v22, v2
	v_add_nc_u32_e32 v22, v23, v2
	;; [unrolled: 1-line block ×16, first 2 shown]
	s_mov_b32 s0, exec_lo
	s_waitcnt vmcnt(15)
	ds_write_b32 v21, v4
	s_waitcnt vmcnt(14)
	ds_write_b32 v22, v5 offset:128
	s_waitcnt vmcnt(13)
	ds_write_b32 v23, v6 offset:256
	;; [unrolled: 2-line block ×15, first 2 shown]
	; wave barrier
	ds_read2_b32 v[11:12], v20 offset1:1
	ds_read2_b32 v[9:10], v20 offset0:2 offset1:3
	ds_read2_b32 v[7:8], v20 offset0:4 offset1:5
	ds_read2_b32 v[5:6], v20 offset0:6 offset1:7
	ds_read2_b32 v[13:14], v20 offset0:8 offset1:9
	ds_read2_b32 v[15:16], v20 offset0:10 offset1:11
	v_lshrrev_b32_e32 v38, 3, v0
	v_and_b32_e32 v38, 0x7c, v38
	v_lshl_add_u32 v38, v0, 2, v38
	s_waitcnt lgkmcnt(5)
	v_add_nc_u32_e32 v1, v12, v11
	s_waitcnt lgkmcnt(4)
	v_add3_u32 v1, v1, v9, v10
	s_waitcnt lgkmcnt(3)
	v_add3_u32 v37, v1, v7, v8
	ds_read2_b32 v[3:4], v20 offset0:12 offset1:13
	ds_read2_b32 v[1:2], v20 offset0:14 offset1:15
	s_waitcnt lgkmcnt(0)
	s_barrier
	buffer_gl0_inv
	v_add3_u32 v37, v37, v5, v6
	v_add3_u32 v37, v37, v13, v14
	;; [unrolled: 1-line block ×4, first 2 shown]
	v_mov_b32_e32 v37, 0
	v_add3_u32 v2, v39, v1, v2
	ds_write_b32 v38, v2
	s_waitcnt lgkmcnt(0)
	s_barrier
	buffer_gl0_inv
	v_cmpx_gt_u32_e32 32, v0
	s_cbranch_execz .LBB4_2
; %bb.1:
	v_lshrrev_b32_e32 v38, 2, v0
	v_and_b32_e32 v41, 15, v19
	v_bfe_i32 v43, v19, 4, 1
	v_and_b32_e32 v38, 0xfc, v38
	v_cmp_ne_u32_e32 vcc_lo, 0, v41
	v_lshl_add_u32 v40, v0, 3, v38
	ds_read2_b32 v[38:39], v40 offset1:1
	; wave barrier
	s_waitcnt lgkmcnt(0)
	v_add_nc_u32_e32 v39, v39, v38
	v_mov_b32_dpp v42, v39 row_shr:1 row_mask:0xf bank_mask:0xf
	v_cndmask_b32_e32 v42, 0, v42, vcc_lo
	v_cmp_lt_u32_e32 vcc_lo, 1, v41
	v_add_nc_u32_e32 v39, v42, v39
	v_mov_b32_dpp v42, v39 row_shr:2 row_mask:0xf bank_mask:0xf
	v_cndmask_b32_e32 v42, 0, v42, vcc_lo
	v_cmp_lt_u32_e32 vcc_lo, 3, v41
	v_add_nc_u32_e32 v39, v39, v42
	v_mov_b32_dpp v42, v39 row_shr:4 row_mask:0xf bank_mask:0xf
	v_cndmask_b32_e32 v42, 0, v42, vcc_lo
	v_cmp_lt_u32_e32 vcc_lo, 7, v41
	v_add_nc_u32_e32 v39, v39, v42
	v_mov_b32_dpp v42, v39 row_shr:8 row_mask:0xf bank_mask:0xf
	v_cndmask_b32_e32 v41, 0, v42, vcc_lo
	v_add_nc_u32_e32 v42, -1, v19
	v_add_nc_u32_e32 v39, v39, v41
	v_cmp_gt_i32_e32 vcc_lo, 0, v42
	ds_swizzle_b32 v41, v39 offset:swizzle(BROADCAST,32,15)
	v_cndmask_b32_e32 v19, v42, v19, vcc_lo
	v_cmp_eq_u32_e32 vcc_lo, 0, v0
	v_lshlrev_b32_e32 v19, 2, v19
	s_waitcnt lgkmcnt(0)
	v_and_b32_e32 v41, v43, v41
	v_add_nc_u32_e32 v39, v39, v41
	ds_bpermute_b32 v19, v19, v39
	s_waitcnt lgkmcnt(0)
	v_add_nc_u32_e32 v19, v19, v38
	v_cndmask_b32_e32 v2, v19, v2, vcc_lo
	ds_write_b32 v40, v2
	; wave barrier
	ds_read_b32 v19, v40 offset:4
	s_waitcnt lgkmcnt(0)
	v_add_nc_u32_e32 v2, v19, v2
	ds_write_b32 v40, v2 offset:4
.LBB4_2:
	s_or_b32 exec_lo, exec_lo, s0
	s_mov_b32 s1, exec_lo
	v_cmp_eq_u32_e32 vcc_lo, 0, v0
	s_waitcnt lgkmcnt(0)
	s_barrier
	buffer_gl0_inv
	v_cmpx_ne_u32_e32 0, v0
	s_cbranch_execz .LBB4_4
; %bb.3:
	v_add_nc_u32_e32 v0, -1, v0
	v_lshrrev_b32_e32 v2, 3, v0
	v_and_b32_e32 v2, 0x1ffffffc, v2
	v_lshl_add_u32 v0, v0, 2, v2
	ds_read_b32 v37, v0
.LBB4_4:
	s_or_b32 exec_lo, exec_lo, s1
	s_waitcnt lgkmcnt(0)
	v_add_nc_u32_e32 v2, v37, v11
	v_mov_b32_e32 v0, 0
	v_add_nc_u32_e32 v11, v2, v12
	ds_read_b32 v0, v0 offset:256
	s_waitcnt lgkmcnt(0)
	s_barrier
	buffer_gl0_inv
	v_add_nc_u32_e32 v9, v11, v9
	v_add_nc_u32_e32 v10, v9, v10
	;; [unrolled: 1-line block ×3, first 2 shown]
	ds_write2_b32 v20, v37, v2 offset1:1
	ds_write2_b32 v20, v11, v9 offset0:2 offset1:3
	ds_write2_b32 v20, v10, v7 offset0:4 offset1:5
	v_add_nc_u32_e32 v8, v7, v8
	v_add_nc_u32_e32 v5, v8, v5
	;; [unrolled: 1-line block ×7, first 2 shown]
	v_add_co_u32 v16, s0, s2, v18
	v_add_co_ci_u32_e64 v18, null, s3, 0, s0
	v_add_nc_u32_e32 v3, v15, v3
	v_add_nc_u32_e32 v4, v3, v4
	;; [unrolled: 1-line block ×3, first 2 shown]
	ds_write2_b32 v20, v8, v5 offset0:6 offset1:7
	ds_write2_b32 v20, v6, v12 offset0:8 offset1:9
	;; [unrolled: 1-line block ×5, first 2 shown]
	; wave barrier
	ds_read_b32 v3, v21
	ds_read_b32 v4, v22 offset:128
	ds_read_b32 v5, v23 offset:256
	;; [unrolled: 1-line block ×15, first 2 shown]
	v_add_co_u32 v1, s0, v16, v17
	v_add_co_ci_u32_e64 v2, null, 0, v18, s0
	s_waitcnt lgkmcnt(15)
	global_store_dword v[1:2], v3, off
	s_waitcnt lgkmcnt(14)
	global_store_dword v[1:2], v4, off offset:128
	s_waitcnt lgkmcnt(13)
	global_store_dword v[1:2], v5, off offset:256
	;; [unrolled: 2-line block ×15, first 2 shown]
	s_and_saveexec_b32 s0, vcc_lo
	s_cbranch_execz .LBB4_6
; %bb.5:
	v_mov_b32_e32 v1, 0x1000
	global_store_dword v1, v0, s[2:3]
.LBB4_6:
	s_endpgm
	.section	.rodata,"a",@progbits
	.p2align	6, 0x0
	.amdhsa_kernel _Z20BlockPrefixSumKernelILi64ELi16ELN6hipcub16HIPCUB_304000_NS18BlockScanAlgorithmE1EEvPKiPi
		.amdhsa_group_segment_fixed_size 4224
		.amdhsa_private_segment_fixed_size 0
		.amdhsa_kernarg_size 16
		.amdhsa_user_sgpr_count 6
		.amdhsa_user_sgpr_private_segment_buffer 1
		.amdhsa_user_sgpr_dispatch_ptr 0
		.amdhsa_user_sgpr_queue_ptr 0
		.amdhsa_user_sgpr_kernarg_segment_ptr 1
		.amdhsa_user_sgpr_dispatch_id 0
		.amdhsa_user_sgpr_flat_scratch_init 0
		.amdhsa_user_sgpr_private_segment_size 0
		.amdhsa_wavefront_size32 1
		.amdhsa_uses_dynamic_stack 0
		.amdhsa_system_sgpr_private_segment_wavefront_offset 0
		.amdhsa_system_sgpr_workgroup_id_x 1
		.amdhsa_system_sgpr_workgroup_id_y 0
		.amdhsa_system_sgpr_workgroup_id_z 0
		.amdhsa_system_sgpr_workgroup_info 0
		.amdhsa_system_vgpr_workitem_id 0
		.amdhsa_next_free_vgpr 44
		.amdhsa_next_free_sgpr 6
		.amdhsa_reserve_vcc 1
		.amdhsa_reserve_flat_scratch 0
		.amdhsa_float_round_mode_32 0
		.amdhsa_float_round_mode_16_64 0
		.amdhsa_float_denorm_mode_32 3
		.amdhsa_float_denorm_mode_16_64 3
		.amdhsa_dx10_clamp 1
		.amdhsa_ieee_mode 1
		.amdhsa_fp16_overflow 0
		.amdhsa_workgroup_processor_mode 1
		.amdhsa_memory_ordered 1
		.amdhsa_forward_progress 1
		.amdhsa_shared_vgpr_count 0
		.amdhsa_exception_fp_ieee_invalid_op 0
		.amdhsa_exception_fp_denorm_src 0
		.amdhsa_exception_fp_ieee_div_zero 0
		.amdhsa_exception_fp_ieee_overflow 0
		.amdhsa_exception_fp_ieee_underflow 0
		.amdhsa_exception_fp_ieee_inexact 0
		.amdhsa_exception_int_div_zero 0
	.end_amdhsa_kernel
	.section	.text._Z20BlockPrefixSumKernelILi64ELi16ELN6hipcub16HIPCUB_304000_NS18BlockScanAlgorithmE1EEvPKiPi,"axG",@progbits,_Z20BlockPrefixSumKernelILi64ELi16ELN6hipcub16HIPCUB_304000_NS18BlockScanAlgorithmE1EEvPKiPi,comdat
.Lfunc_end4:
	.size	_Z20BlockPrefixSumKernelILi64ELi16ELN6hipcub16HIPCUB_304000_NS18BlockScanAlgorithmE1EEvPKiPi, .Lfunc_end4-_Z20BlockPrefixSumKernelILi64ELi16ELN6hipcub16HIPCUB_304000_NS18BlockScanAlgorithmE1EEvPKiPi
                                        ; -- End function
	.set _Z20BlockPrefixSumKernelILi64ELi16ELN6hipcub16HIPCUB_304000_NS18BlockScanAlgorithmE1EEvPKiPi.num_vgpr, 44
	.set _Z20BlockPrefixSumKernelILi64ELi16ELN6hipcub16HIPCUB_304000_NS18BlockScanAlgorithmE1EEvPKiPi.num_agpr, 0
	.set _Z20BlockPrefixSumKernelILi64ELi16ELN6hipcub16HIPCUB_304000_NS18BlockScanAlgorithmE1EEvPKiPi.numbered_sgpr, 6
	.set _Z20BlockPrefixSumKernelILi64ELi16ELN6hipcub16HIPCUB_304000_NS18BlockScanAlgorithmE1EEvPKiPi.num_named_barrier, 0
	.set _Z20BlockPrefixSumKernelILi64ELi16ELN6hipcub16HIPCUB_304000_NS18BlockScanAlgorithmE1EEvPKiPi.private_seg_size, 0
	.set _Z20BlockPrefixSumKernelILi64ELi16ELN6hipcub16HIPCUB_304000_NS18BlockScanAlgorithmE1EEvPKiPi.uses_vcc, 1
	.set _Z20BlockPrefixSumKernelILi64ELi16ELN6hipcub16HIPCUB_304000_NS18BlockScanAlgorithmE1EEvPKiPi.uses_flat_scratch, 0
	.set _Z20BlockPrefixSumKernelILi64ELi16ELN6hipcub16HIPCUB_304000_NS18BlockScanAlgorithmE1EEvPKiPi.has_dyn_sized_stack, 0
	.set _Z20BlockPrefixSumKernelILi64ELi16ELN6hipcub16HIPCUB_304000_NS18BlockScanAlgorithmE1EEvPKiPi.has_recursion, 0
	.set _Z20BlockPrefixSumKernelILi64ELi16ELN6hipcub16HIPCUB_304000_NS18BlockScanAlgorithmE1EEvPKiPi.has_indirect_call, 0
	.section	.AMDGPU.csdata,"",@progbits
; Kernel info:
; codeLenInByte = 1716
; TotalNumSgprs: 8
; NumVgprs: 44
; ScratchSize: 0
; MemoryBound: 0
; FloatMode: 240
; IeeeMode: 1
; LDSByteSize: 4224 bytes/workgroup (compile time only)
; SGPRBlocks: 0
; VGPRBlocks: 5
; NumSGPRsForWavesPerEU: 8
; NumVGPRsForWavesPerEU: 44
; Occupancy: 16
; WaveLimiterHint : 1
; COMPUTE_PGM_RSRC2:SCRATCH_EN: 0
; COMPUTE_PGM_RSRC2:USER_SGPR: 6
; COMPUTE_PGM_RSRC2:TRAP_HANDLER: 0
; COMPUTE_PGM_RSRC2:TGID_X_EN: 1
; COMPUTE_PGM_RSRC2:TGID_Y_EN: 0
; COMPUTE_PGM_RSRC2:TGID_Z_EN: 0
; COMPUTE_PGM_RSRC2:TIDIG_COMP_CNT: 0
	.section	.text._Z20BlockPrefixSumKernelILi1024ELi1ELN6hipcub16HIPCUB_304000_NS18BlockScanAlgorithmE0EEvPKiPi,"axG",@progbits,_Z20BlockPrefixSumKernelILi1024ELi1ELN6hipcub16HIPCUB_304000_NS18BlockScanAlgorithmE0EEvPKiPi,comdat
	.protected	_Z20BlockPrefixSumKernelILi1024ELi1ELN6hipcub16HIPCUB_304000_NS18BlockScanAlgorithmE0EEvPKiPi ; -- Begin function _Z20BlockPrefixSumKernelILi1024ELi1ELN6hipcub16HIPCUB_304000_NS18BlockScanAlgorithmE0EEvPKiPi
	.globl	_Z20BlockPrefixSumKernelILi1024ELi1ELN6hipcub16HIPCUB_304000_NS18BlockScanAlgorithmE0EEvPKiPi
	.p2align	8
	.type	_Z20BlockPrefixSumKernelILi1024ELi1ELN6hipcub16HIPCUB_304000_NS18BlockScanAlgorithmE0EEvPKiPi,@function
_Z20BlockPrefixSumKernelILi1024ELi1ELN6hipcub16HIPCUB_304000_NS18BlockScanAlgorithmE0EEvPKiPi: ; @_Z20BlockPrefixSumKernelILi1024ELi1ELN6hipcub16HIPCUB_304000_NS18BlockScanAlgorithmE0EEvPKiPi
; %bb.0:
	s_load_dwordx4 s[4:7], s[4:5], 0x0
	v_mbcnt_lo_u32_b32 v3, -1, 0
	v_and_b32_e32 v2, 0x3e0, v0
	v_and_b32_e32 v9, 31, v0
	v_lshlrev_b32_e32 v1, 2, v3
	v_lshlrev_b32_e32 v2, 2, v2
	v_and_b32_e32 v6, 15, v3
	v_and_b32_e32 v8, 16, v3
	v_cmp_lt_u32_e64 s1, 3, v6
	v_cmp_lt_u32_e64 s2, 7, v6
	v_cmp_eq_u32_e64 s3, 0, v8
	s_waitcnt lgkmcnt(0)
	v_add_co_u32 v4, s0, s4, v1
	v_add_co_ci_u32_e64 v5, null, s5, 0, s0
	v_cmp_lt_u32_e64 s0, 1, v6
	v_add_co_u32 v4, vcc_lo, v4, v2
	v_add_co_ci_u32_e64 v5, null, 0, v5, vcc_lo
	v_cmp_eq_u32_e32 vcc_lo, 0, v6
	s_mov_b32 s5, exec_lo
	global_load_dword v5, v[4:5], off
	v_or_b32_e32 v4, v1, v2
	s_waitcnt vmcnt(0)
	ds_write_b32 v4, v5
	; wave barrier
	ds_read_b32 v5, v4
	s_waitcnt lgkmcnt(0)
	s_barrier
	buffer_gl0_inv
	v_mov_b32_dpp v7, v5 row_shr:1 row_mask:0xf bank_mask:0xf
	v_cndmask_b32_e64 v7, v7, 0, vcc_lo
	v_add_nc_u32_e32 v5, v7, v5
	v_mov_b32_dpp v7, v5 row_shr:2 row_mask:0xf bank_mask:0xf
	v_cndmask_b32_e64 v7, 0, v7, s0
	v_add_nc_u32_e32 v5, v5, v7
	v_mov_b32_dpp v7, v5 row_shr:4 row_mask:0xf bank_mask:0xf
	v_cndmask_b32_e64 v7, 0, v7, s1
	;; [unrolled: 3-line block ×3, first 2 shown]
	v_bfe_i32 v7, v3, 4, 1
	v_add_nc_u32_e32 v5, v5, v6
	ds_swizzle_b32 v6, v5 offset:swizzle(BROADCAST,32,15)
	s_waitcnt lgkmcnt(0)
	v_and_b32_e32 v7, v7, v6
	v_lshrrev_b32_e32 v6, 5, v0
	v_add_nc_u32_e32 v5, v5, v7
	v_cmpx_eq_u32_e32 31, v9
; %bb.1:
	v_lshlrev_b32_e32 v7, 2, v6
	ds_write_b32 v7, v5
; %bb.2:
	s_or_b32 exec_lo, exec_lo, s5
	v_cmp_lt_u32_e64 s4, 31, v0
	s_mov_b32 s8, exec_lo
	s_waitcnt lgkmcnt(0)
	s_barrier
	buffer_gl0_inv
	v_cmpx_gt_u32_e32 32, v0
	s_cbranch_execz .LBB5_4
; %bb.3:
	v_lshlrev_b32_e32 v7, 2, v0
	ds_read_b32 v8, v7
	s_waitcnt lgkmcnt(0)
	v_mov_b32_dpp v9, v8 row_shr:1 row_mask:0xf bank_mask:0xf
	v_cndmask_b32_e64 v9, v9, 0, vcc_lo
	v_add_nc_u32_e32 v8, v9, v8
	v_mov_b32_dpp v9, v8 row_shr:2 row_mask:0xf bank_mask:0xf
	v_cndmask_b32_e64 v9, 0, v9, s0
	v_add_nc_u32_e32 v8, v8, v9
	v_mov_b32_dpp v9, v8 row_shr:4 row_mask:0xf bank_mask:0xf
	v_cndmask_b32_e64 v9, 0, v9, s1
	;; [unrolled: 3-line block ×3, first 2 shown]
	v_add_nc_u32_e32 v8, v8, v9
	ds_swizzle_b32 v9, v8 offset:swizzle(BROADCAST,32,15)
	s_waitcnt lgkmcnt(0)
	v_cndmask_b32_e64 v9, v9, 0, s3
	v_add_nc_u32_e32 v8, v8, v9
	ds_write_b32 v7, v8
.LBB5_4:
	s_or_b32 exec_lo, exec_lo, s8
	v_mov_b32_e32 v7, 0
	v_mov_b32_e32 v8, 0
	s_waitcnt lgkmcnt(0)
	s_barrier
	buffer_gl0_inv
	s_and_saveexec_b32 s0, s4
; %bb.5:
	v_lshl_add_u32 v6, v6, 2, -4
	ds_read_b32 v8, v6
; %bb.6:
	s_or_b32 exec_lo, exec_lo, s0
	v_sub_co_u32 v6, vcc_lo, v3, 1
	s_waitcnt lgkmcnt(0)
	v_add_nc_u32_e32 v5, v8, v5
	v_cmp_gt_i32_e64 s0, 0, v6
	v_cndmask_b32_e64 v3, v6, v3, s0
	v_add_co_u32 v1, s0, s6, v1
	v_lshlrev_b32_e32 v3, 2, v3
	ds_bpermute_b32 v3, v3, v5
	s_waitcnt lgkmcnt(0)
	v_cndmask_b32_e32 v5, v3, v8, vcc_lo
	ds_read_b32 v3, v7 offset:124
	s_waitcnt lgkmcnt(0)
	s_barrier
	buffer_gl0_inv
	ds_write_b32 v4, v5
	; wave barrier
	ds_read_b32 v4, v4
	v_add_co_ci_u32_e64 v5, null, s7, 0, s0
	v_add_co_u32 v1, vcc_lo, v1, v2
	s_mov_b32 s0, exec_lo
	v_add_co_ci_u32_e64 v2, null, 0, v5, vcc_lo
	s_waitcnt lgkmcnt(0)
	global_store_dword v[1:2], v4, off
	v_cmpx_eq_u32_e32 0, v0
	s_cbranch_execz .LBB5_8
; %bb.7:
	v_mov_b32_e32 v0, 0x1000
	global_store_dword v0, v3, s[6:7]
.LBB5_8:
	s_endpgm
	.section	.rodata,"a",@progbits
	.p2align	6, 0x0
	.amdhsa_kernel _Z20BlockPrefixSumKernelILi1024ELi1ELN6hipcub16HIPCUB_304000_NS18BlockScanAlgorithmE0EEvPKiPi
		.amdhsa_group_segment_fixed_size 4096
		.amdhsa_private_segment_fixed_size 0
		.amdhsa_kernarg_size 16
		.amdhsa_user_sgpr_count 6
		.amdhsa_user_sgpr_private_segment_buffer 1
		.amdhsa_user_sgpr_dispatch_ptr 0
		.amdhsa_user_sgpr_queue_ptr 0
		.amdhsa_user_sgpr_kernarg_segment_ptr 1
		.amdhsa_user_sgpr_dispatch_id 0
		.amdhsa_user_sgpr_flat_scratch_init 0
		.amdhsa_user_sgpr_private_segment_size 0
		.amdhsa_wavefront_size32 1
		.amdhsa_uses_dynamic_stack 0
		.amdhsa_system_sgpr_private_segment_wavefront_offset 0
		.amdhsa_system_sgpr_workgroup_id_x 1
		.amdhsa_system_sgpr_workgroup_id_y 0
		.amdhsa_system_sgpr_workgroup_id_z 0
		.amdhsa_system_sgpr_workgroup_info 0
		.amdhsa_system_vgpr_workitem_id 0
		.amdhsa_next_free_vgpr 10
		.amdhsa_next_free_sgpr 9
		.amdhsa_reserve_vcc 1
		.amdhsa_reserve_flat_scratch 0
		.amdhsa_float_round_mode_32 0
		.amdhsa_float_round_mode_16_64 0
		.amdhsa_float_denorm_mode_32 3
		.amdhsa_float_denorm_mode_16_64 3
		.amdhsa_dx10_clamp 1
		.amdhsa_ieee_mode 1
		.amdhsa_fp16_overflow 0
		.amdhsa_workgroup_processor_mode 1
		.amdhsa_memory_ordered 1
		.amdhsa_forward_progress 1
		.amdhsa_shared_vgpr_count 0
		.amdhsa_exception_fp_ieee_invalid_op 0
		.amdhsa_exception_fp_denorm_src 0
		.amdhsa_exception_fp_ieee_div_zero 0
		.amdhsa_exception_fp_ieee_overflow 0
		.amdhsa_exception_fp_ieee_underflow 0
		.amdhsa_exception_fp_ieee_inexact 0
		.amdhsa_exception_int_div_zero 0
	.end_amdhsa_kernel
	.section	.text._Z20BlockPrefixSumKernelILi1024ELi1ELN6hipcub16HIPCUB_304000_NS18BlockScanAlgorithmE0EEvPKiPi,"axG",@progbits,_Z20BlockPrefixSumKernelILi1024ELi1ELN6hipcub16HIPCUB_304000_NS18BlockScanAlgorithmE0EEvPKiPi,comdat
.Lfunc_end5:
	.size	_Z20BlockPrefixSumKernelILi1024ELi1ELN6hipcub16HIPCUB_304000_NS18BlockScanAlgorithmE0EEvPKiPi, .Lfunc_end5-_Z20BlockPrefixSumKernelILi1024ELi1ELN6hipcub16HIPCUB_304000_NS18BlockScanAlgorithmE0EEvPKiPi
                                        ; -- End function
	.set _Z20BlockPrefixSumKernelILi1024ELi1ELN6hipcub16HIPCUB_304000_NS18BlockScanAlgorithmE0EEvPKiPi.num_vgpr, 10
	.set _Z20BlockPrefixSumKernelILi1024ELi1ELN6hipcub16HIPCUB_304000_NS18BlockScanAlgorithmE0EEvPKiPi.num_agpr, 0
	.set _Z20BlockPrefixSumKernelILi1024ELi1ELN6hipcub16HIPCUB_304000_NS18BlockScanAlgorithmE0EEvPKiPi.numbered_sgpr, 9
	.set _Z20BlockPrefixSumKernelILi1024ELi1ELN6hipcub16HIPCUB_304000_NS18BlockScanAlgorithmE0EEvPKiPi.num_named_barrier, 0
	.set _Z20BlockPrefixSumKernelILi1024ELi1ELN6hipcub16HIPCUB_304000_NS18BlockScanAlgorithmE0EEvPKiPi.private_seg_size, 0
	.set _Z20BlockPrefixSumKernelILi1024ELi1ELN6hipcub16HIPCUB_304000_NS18BlockScanAlgorithmE0EEvPKiPi.uses_vcc, 1
	.set _Z20BlockPrefixSumKernelILi1024ELi1ELN6hipcub16HIPCUB_304000_NS18BlockScanAlgorithmE0EEvPKiPi.uses_flat_scratch, 0
	.set _Z20BlockPrefixSumKernelILi1024ELi1ELN6hipcub16HIPCUB_304000_NS18BlockScanAlgorithmE0EEvPKiPi.has_dyn_sized_stack, 0
	.set _Z20BlockPrefixSumKernelILi1024ELi1ELN6hipcub16HIPCUB_304000_NS18BlockScanAlgorithmE0EEvPKiPi.has_recursion, 0
	.set _Z20BlockPrefixSumKernelILi1024ELi1ELN6hipcub16HIPCUB_304000_NS18BlockScanAlgorithmE0EEvPKiPi.has_indirect_call, 0
	.section	.AMDGPU.csdata,"",@progbits
; Kernel info:
; codeLenInByte = 684
; TotalNumSgprs: 11
; NumVgprs: 10
; ScratchSize: 0
; MemoryBound: 0
; FloatMode: 240
; IeeeMode: 1
; LDSByteSize: 4096 bytes/workgroup (compile time only)
; SGPRBlocks: 0
; VGPRBlocks: 1
; NumSGPRsForWavesPerEU: 11
; NumVGPRsForWavesPerEU: 10
; Occupancy: 16
; WaveLimiterHint : 0
; COMPUTE_PGM_RSRC2:SCRATCH_EN: 0
; COMPUTE_PGM_RSRC2:USER_SGPR: 6
; COMPUTE_PGM_RSRC2:TRAP_HANDLER: 0
; COMPUTE_PGM_RSRC2:TGID_X_EN: 1
; COMPUTE_PGM_RSRC2:TGID_Y_EN: 0
; COMPUTE_PGM_RSRC2:TGID_Z_EN: 0
; COMPUTE_PGM_RSRC2:TIDIG_COMP_CNT: 0
	.section	.text._Z20BlockPrefixSumKernelILi512ELi2ELN6hipcub16HIPCUB_304000_NS18BlockScanAlgorithmE0EEvPKiPi,"axG",@progbits,_Z20BlockPrefixSumKernelILi512ELi2ELN6hipcub16HIPCUB_304000_NS18BlockScanAlgorithmE0EEvPKiPi,comdat
	.protected	_Z20BlockPrefixSumKernelILi512ELi2ELN6hipcub16HIPCUB_304000_NS18BlockScanAlgorithmE0EEvPKiPi ; -- Begin function _Z20BlockPrefixSumKernelILi512ELi2ELN6hipcub16HIPCUB_304000_NS18BlockScanAlgorithmE0EEvPKiPi
	.globl	_Z20BlockPrefixSumKernelILi512ELi2ELN6hipcub16HIPCUB_304000_NS18BlockScanAlgorithmE0EEvPKiPi
	.p2align	8
	.type	_Z20BlockPrefixSumKernelILi512ELi2ELN6hipcub16HIPCUB_304000_NS18BlockScanAlgorithmE0EEvPKiPi,@function
_Z20BlockPrefixSumKernelILi512ELi2ELN6hipcub16HIPCUB_304000_NS18BlockScanAlgorithmE0EEvPKiPi: ; @_Z20BlockPrefixSumKernelILi512ELi2ELN6hipcub16HIPCUB_304000_NS18BlockScanAlgorithmE0EEvPKiPi
; %bb.0:
	s_load_dwordx4 s[4:7], s[4:5], 0x0
	v_lshlrev_b32_e32 v1, 1, v0
	v_mbcnt_lo_u32_b32 v5, -1, 0
	v_and_b32_e32 v10, 0x3e0, v0
	v_and_b32_e32 v6, 0x7c0, v1
	v_lshlrev_b32_e32 v3, 2, v5
	v_or_b32_e32 v8, v5, v10
	v_min_u32_e32 v10, 0x1e0, v10
	v_lshlrev_b32_e32 v4, 2, v6
	v_or_b32_e32 v7, 32, v6
	v_lshlrev_b32_e32 v11, 1, v8
	v_bfe_u32 v8, v8, 4, 27
	v_or_b32_e32 v10, 31, v10
	v_lshrrev_b32_e32 v7, 3, v7
	v_add_lshl_u32 v8, v8, v11, 2
	s_waitcnt lgkmcnt(0)
	v_add_co_u32 v1, s0, s4, v3
	v_add_co_ci_u32_e64 v2, null, s5, 0, s0
	s_mov_b32 s4, exec_lo
	v_add_co_u32 v1, vcc_lo, v1, v4
	v_add_co_ci_u32_e64 v2, null, 0, v2, vcc_lo
	s_clause 0x1
	global_load_dword v9, v[1:2], off
	global_load_dword v1, v[1:2], off offset:128
	v_or_b32_e32 v2, v5, v6
	v_lshrrev_b32_e32 v6, 3, v6
	v_lshlrev_b32_e32 v2, 2, v2
	v_add_nc_u32_e32 v6, v6, v2
	v_add_nc_u32_e32 v7, v7, v2
	s_waitcnt vmcnt(1)
	ds_write_b32 v6, v9
	s_waitcnt vmcnt(0)
	ds_write_b32 v7, v1 offset:128
	; wave barrier
	ds_read2_b32 v[1:2], v8 offset1:1
	v_and_b32_e32 v9, 15, v5
	s_waitcnt lgkmcnt(0)
	s_barrier
	buffer_gl0_inv
	v_cmp_eq_u32_e32 vcc_lo, 0, v9
	v_cmp_lt_u32_e64 s0, 1, v9
	v_cmp_lt_u32_e64 s1, 3, v9
	;; [unrolled: 1-line block ×3, first 2 shown]
	v_add_nc_u32_e32 v2, v2, v1
	v_mov_b32_dpp v11, v2 row_shr:1 row_mask:0xf bank_mask:0xf
	v_cndmask_b32_e64 v11, v11, 0, vcc_lo
	v_add_nc_u32_e32 v2, v11, v2
	v_mov_b32_dpp v11, v2 row_shr:2 row_mask:0xf bank_mask:0xf
	v_cndmask_b32_e64 v11, 0, v11, s0
	v_add_nc_u32_e32 v2, v2, v11
	v_mov_b32_dpp v11, v2 row_shr:4 row_mask:0xf bank_mask:0xf
	v_cndmask_b32_e64 v11, 0, v11, s1
	;; [unrolled: 3-line block ×3, first 2 shown]
	v_bfe_i32 v11, v5, 4, 1
	v_add_nc_u32_e32 v2, v2, v9
	ds_swizzle_b32 v9, v2 offset:swizzle(BROADCAST,32,15)
	s_waitcnt lgkmcnt(0)
	v_and_b32_e32 v11, v11, v9
	v_lshrrev_b32_e32 v9, 5, v0
	v_add_nc_u32_e32 v2, v2, v11
	v_cmpx_eq_u32_e64 v0, v10
; %bb.1:
	v_lshlrev_b32_e32 v10, 2, v9
	ds_write_b32 v10, v2
; %bb.2:
	s_or_b32 exec_lo, exec_lo, s4
	s_mov_b32 s4, exec_lo
	s_waitcnt lgkmcnt(0)
	s_barrier
	buffer_gl0_inv
	v_cmpx_gt_u32_e32 16, v0
	s_cbranch_execz .LBB6_4
; %bb.3:
	v_lshlrev_b32_e32 v10, 2, v0
	ds_read_b32 v11, v10
	s_waitcnt lgkmcnt(0)
	v_mov_b32_dpp v12, v11 row_shr:1 row_mask:0xf bank_mask:0xf
	v_cndmask_b32_e64 v12, v12, 0, vcc_lo
	v_add_nc_u32_e32 v11, v12, v11
	v_mov_b32_dpp v12, v11 row_shr:2 row_mask:0xf bank_mask:0xf
	v_cndmask_b32_e64 v12, 0, v12, s0
	v_add_nc_u32_e32 v11, v11, v12
	v_mov_b32_dpp v12, v11 row_shr:4 row_mask:0xf bank_mask:0xf
	v_cndmask_b32_e64 v12, 0, v12, s1
	;; [unrolled: 3-line block ×3, first 2 shown]
	v_add_nc_u32_e32 v11, v11, v12
	ds_write_b32 v10, v11
.LBB6_4:
	s_or_b32 exec_lo, exec_lo, s4
	v_mov_b32_e32 v10, 0
	v_mov_b32_e32 v11, 0
	s_mov_b32 s0, exec_lo
	s_waitcnt lgkmcnt(0)
	s_barrier
	buffer_gl0_inv
	v_cmpx_lt_u32_e32 31, v0
; %bb.5:
	v_lshl_add_u32 v9, v9, 2, -4
	ds_read_b32 v11, v9
; %bb.6:
	s_or_b32 exec_lo, exec_lo, s0
	v_sub_co_u32 v9, vcc_lo, v5, 1
	s_waitcnt lgkmcnt(0)
	v_add_nc_u32_e32 v2, v11, v2
	v_cmp_gt_i32_e64 s0, 0, v9
	v_cndmask_b32_e64 v5, v9, v5, s0
	v_lshlrev_b32_e32 v5, 2, v5
	ds_bpermute_b32 v2, v5, v2
	s_waitcnt lgkmcnt(0)
	v_cndmask_b32_e32 v2, v2, v11, vcc_lo
	v_cmp_eq_u32_e32 vcc_lo, 0, v0
	ds_read_b32 v0, v10 offset:60
	s_waitcnt lgkmcnt(0)
	s_barrier
	buffer_gl0_inv
	v_cndmask_b32_e64 v2, v2, 0, vcc_lo
	v_add_nc_u32_e32 v1, v2, v1
	ds_write2_b32 v8, v2, v1 offset1:1
	; wave barrier
	ds_read_b32 v5, v6
	ds_read_b32 v6, v7 offset:128
	v_add_co_u32 v1, s0, s6, v3
	v_add_co_ci_u32_e64 v2, null, s7, 0, s0
	v_add_co_u32 v1, s0, v1, v4
	v_add_co_ci_u32_e64 v2, null, 0, v2, s0
	s_waitcnt lgkmcnt(1)
	global_store_dword v[1:2], v5, off
	s_waitcnt lgkmcnt(0)
	global_store_dword v[1:2], v6, off offset:128
	s_and_saveexec_b32 s0, vcc_lo
	s_cbranch_execz .LBB6_8
; %bb.7:
	v_mov_b32_e32 v1, 0x1000
	global_store_dword v1, v0, s[6:7]
.LBB6_8:
	s_endpgm
	.section	.rodata,"a",@progbits
	.p2align	6, 0x0
	.amdhsa_kernel _Z20BlockPrefixSumKernelILi512ELi2ELN6hipcub16HIPCUB_304000_NS18BlockScanAlgorithmE0EEvPKiPi
		.amdhsa_group_segment_fixed_size 4224
		.amdhsa_private_segment_fixed_size 0
		.amdhsa_kernarg_size 16
		.amdhsa_user_sgpr_count 6
		.amdhsa_user_sgpr_private_segment_buffer 1
		.amdhsa_user_sgpr_dispatch_ptr 0
		.amdhsa_user_sgpr_queue_ptr 0
		.amdhsa_user_sgpr_kernarg_segment_ptr 1
		.amdhsa_user_sgpr_dispatch_id 0
		.amdhsa_user_sgpr_flat_scratch_init 0
		.amdhsa_user_sgpr_private_segment_size 0
		.amdhsa_wavefront_size32 1
		.amdhsa_uses_dynamic_stack 0
		.amdhsa_system_sgpr_private_segment_wavefront_offset 0
		.amdhsa_system_sgpr_workgroup_id_x 1
		.amdhsa_system_sgpr_workgroup_id_y 0
		.amdhsa_system_sgpr_workgroup_id_z 0
		.amdhsa_system_sgpr_workgroup_info 0
		.amdhsa_system_vgpr_workitem_id 0
		.amdhsa_next_free_vgpr 13
		.amdhsa_next_free_sgpr 8
		.amdhsa_reserve_vcc 1
		.amdhsa_reserve_flat_scratch 0
		.amdhsa_float_round_mode_32 0
		.amdhsa_float_round_mode_16_64 0
		.amdhsa_float_denorm_mode_32 3
		.amdhsa_float_denorm_mode_16_64 3
		.amdhsa_dx10_clamp 1
		.amdhsa_ieee_mode 1
		.amdhsa_fp16_overflow 0
		.amdhsa_workgroup_processor_mode 1
		.amdhsa_memory_ordered 1
		.amdhsa_forward_progress 1
		.amdhsa_shared_vgpr_count 0
		.amdhsa_exception_fp_ieee_invalid_op 0
		.amdhsa_exception_fp_denorm_src 0
		.amdhsa_exception_fp_ieee_div_zero 0
		.amdhsa_exception_fp_ieee_overflow 0
		.amdhsa_exception_fp_ieee_underflow 0
		.amdhsa_exception_fp_ieee_inexact 0
		.amdhsa_exception_int_div_zero 0
	.end_amdhsa_kernel
	.section	.text._Z20BlockPrefixSumKernelILi512ELi2ELN6hipcub16HIPCUB_304000_NS18BlockScanAlgorithmE0EEvPKiPi,"axG",@progbits,_Z20BlockPrefixSumKernelILi512ELi2ELN6hipcub16HIPCUB_304000_NS18BlockScanAlgorithmE0EEvPKiPi,comdat
.Lfunc_end6:
	.size	_Z20BlockPrefixSumKernelILi512ELi2ELN6hipcub16HIPCUB_304000_NS18BlockScanAlgorithmE0EEvPKiPi, .Lfunc_end6-_Z20BlockPrefixSumKernelILi512ELi2ELN6hipcub16HIPCUB_304000_NS18BlockScanAlgorithmE0EEvPKiPi
                                        ; -- End function
	.set _Z20BlockPrefixSumKernelILi512ELi2ELN6hipcub16HIPCUB_304000_NS18BlockScanAlgorithmE0EEvPKiPi.num_vgpr, 13
	.set _Z20BlockPrefixSumKernelILi512ELi2ELN6hipcub16HIPCUB_304000_NS18BlockScanAlgorithmE0EEvPKiPi.num_agpr, 0
	.set _Z20BlockPrefixSumKernelILi512ELi2ELN6hipcub16HIPCUB_304000_NS18BlockScanAlgorithmE0EEvPKiPi.numbered_sgpr, 8
	.set _Z20BlockPrefixSumKernelILi512ELi2ELN6hipcub16HIPCUB_304000_NS18BlockScanAlgorithmE0EEvPKiPi.num_named_barrier, 0
	.set _Z20BlockPrefixSumKernelILi512ELi2ELN6hipcub16HIPCUB_304000_NS18BlockScanAlgorithmE0EEvPKiPi.private_seg_size, 0
	.set _Z20BlockPrefixSumKernelILi512ELi2ELN6hipcub16HIPCUB_304000_NS18BlockScanAlgorithmE0EEvPKiPi.uses_vcc, 1
	.set _Z20BlockPrefixSumKernelILi512ELi2ELN6hipcub16HIPCUB_304000_NS18BlockScanAlgorithmE0EEvPKiPi.uses_flat_scratch, 0
	.set _Z20BlockPrefixSumKernelILi512ELi2ELN6hipcub16HIPCUB_304000_NS18BlockScanAlgorithmE0EEvPKiPi.has_dyn_sized_stack, 0
	.set _Z20BlockPrefixSumKernelILi512ELi2ELN6hipcub16HIPCUB_304000_NS18BlockScanAlgorithmE0EEvPKiPi.has_recursion, 0
	.set _Z20BlockPrefixSumKernelILi512ELi2ELN6hipcub16HIPCUB_304000_NS18BlockScanAlgorithmE0EEvPKiPi.has_indirect_call, 0
	.section	.AMDGPU.csdata,"",@progbits
; Kernel info:
; codeLenInByte = 776
; TotalNumSgprs: 10
; NumVgprs: 13
; ScratchSize: 0
; MemoryBound: 0
; FloatMode: 240
; IeeeMode: 1
; LDSByteSize: 4224 bytes/workgroup (compile time only)
; SGPRBlocks: 0
; VGPRBlocks: 1
; NumSGPRsForWavesPerEU: 10
; NumVGPRsForWavesPerEU: 13
; Occupancy: 16
; WaveLimiterHint : 1
; COMPUTE_PGM_RSRC2:SCRATCH_EN: 0
; COMPUTE_PGM_RSRC2:USER_SGPR: 6
; COMPUTE_PGM_RSRC2:TRAP_HANDLER: 0
; COMPUTE_PGM_RSRC2:TGID_X_EN: 1
; COMPUTE_PGM_RSRC2:TGID_Y_EN: 0
; COMPUTE_PGM_RSRC2:TGID_Z_EN: 0
; COMPUTE_PGM_RSRC2:TIDIG_COMP_CNT: 0
	.section	.text._Z20BlockPrefixSumKernelILi256ELi4ELN6hipcub16HIPCUB_304000_NS18BlockScanAlgorithmE0EEvPKiPi,"axG",@progbits,_Z20BlockPrefixSumKernelILi256ELi4ELN6hipcub16HIPCUB_304000_NS18BlockScanAlgorithmE0EEvPKiPi,comdat
	.protected	_Z20BlockPrefixSumKernelILi256ELi4ELN6hipcub16HIPCUB_304000_NS18BlockScanAlgorithmE0EEvPKiPi ; -- Begin function _Z20BlockPrefixSumKernelILi256ELi4ELN6hipcub16HIPCUB_304000_NS18BlockScanAlgorithmE0EEvPKiPi
	.globl	_Z20BlockPrefixSumKernelILi256ELi4ELN6hipcub16HIPCUB_304000_NS18BlockScanAlgorithmE0EEvPKiPi
	.p2align	8
	.type	_Z20BlockPrefixSumKernelILi256ELi4ELN6hipcub16HIPCUB_304000_NS18BlockScanAlgorithmE0EEvPKiPi,@function
_Z20BlockPrefixSumKernelILi256ELi4ELN6hipcub16HIPCUB_304000_NS18BlockScanAlgorithmE0EEvPKiPi: ; @_Z20BlockPrefixSumKernelILi256ELi4ELN6hipcub16HIPCUB_304000_NS18BlockScanAlgorithmE0EEvPKiPi
; %bb.0:
	s_load_dwordx4 s[0:3], s[4:5], 0x0
	v_lshlrev_b32_e32 v8, 2, v0
	v_mbcnt_lo_u32_b32 v7, -1, 0
	v_and_b32_e32 v16, 0x3e0, v0
	v_and_b32_e32 v3, 0xf80, v8
	v_lshlrev_b32_e32 v5, 2, v7
	v_lshlrev_b32_e32 v6, 2, v3
	v_or_b32_e32 v9, v7, v3
	v_or_b32_e32 v11, 32, v3
	;; [unrolled: 1-line block ×3, first 2 shown]
	v_lshrrev_b32_e32 v10, 3, v3
	v_or_b32_e32 v3, 0x60, v3
	v_lshlrev_b32_e32 v17, 2, v9
	v_lshrrev_b32_e32 v11, 3, v11
	v_lshrrev_b32_e32 v12, 3, v12
	s_waitcnt lgkmcnt(0)
	v_add_co_u32 v1, s0, s0, v5
	v_add_co_ci_u32_e64 v2, null, s1, 0, s0
	v_lshrrev_b32_e32 v3, 3, v3
	v_add_co_u32 v1, vcc_lo, v1, v6
	v_add_co_ci_u32_e64 v2, null, 0, v2, vcc_lo
	v_add_nc_u32_e32 v9, v10, v17
	v_add_nc_u32_e32 v10, v11, v17
	;; [unrolled: 1-line block ×3, first 2 shown]
	s_clause 0x3
	global_load_dword v4, v[1:2], off
	global_load_dword v14, v[1:2], off offset:128
	global_load_dword v15, v[1:2], off offset:256
	;; [unrolled: 1-line block ×3, first 2 shown]
	v_or_b32_e32 v2, v7, v16
	v_add_nc_u32_e32 v12, v3, v17
	v_min_u32_e32 v16, 0xe0, v16
	s_mov_b32 s0, exec_lo
	s_waitcnt vmcnt(3)
	ds_write_b32 v9, v4
	s_waitcnt vmcnt(2)
	ds_write_b32 v10, v14 offset:128
	s_waitcnt vmcnt(1)
	ds_write_b32 v11, v15 offset:256
	;; [unrolled: 2-line block ×3, first 2 shown]
	v_lshlrev_b32_e32 v13, 2, v2
	v_bfe_u32 v2, v2, 3, 27
	; wave barrier
	v_or_b32_e32 v16, 31, v16
	v_add_lshl_u32 v13, v2, v13, 2
	ds_read2_b32 v[3:4], v13 offset1:1
	ds_read2_b32 v[1:2], v13 offset0:2 offset1:3
	s_waitcnt lgkmcnt(0)
	s_barrier
	buffer_gl0_inv
	v_add_nc_u32_e32 v14, v4, v3
	v_add3_u32 v2, v14, v1, v2
	v_and_b32_e32 v14, 15, v7
	v_mov_b32_dpp v15, v2 row_shr:1 row_mask:0xf bank_mask:0xf
	v_cmp_ne_u32_e32 vcc_lo, 0, v14
	v_cndmask_b32_e32 v15, 0, v15, vcc_lo
	v_cmp_lt_u32_e32 vcc_lo, 1, v14
	v_add_nc_u32_e32 v2, v15, v2
	v_mov_b32_dpp v15, v2 row_shr:2 row_mask:0xf bank_mask:0xf
	v_cndmask_b32_e32 v15, 0, v15, vcc_lo
	v_cmp_lt_u32_e32 vcc_lo, 3, v14
	v_add_nc_u32_e32 v2, v2, v15
	v_mov_b32_dpp v15, v2 row_shr:4 row_mask:0xf bank_mask:0xf
	;; [unrolled: 4-line block ×3, first 2 shown]
	v_cndmask_b32_e32 v14, 0, v15, vcc_lo
	v_bfe_i32 v15, v7, 4, 1
	v_add_nc_u32_e32 v2, v2, v14
	ds_swizzle_b32 v14, v2 offset:swizzle(BROADCAST,32,15)
	s_waitcnt lgkmcnt(0)
	v_and_b32_e32 v15, v15, v14
	v_lshrrev_b32_e32 v14, 5, v0
	v_add_nc_u32_e32 v2, v2, v15
	v_cmpx_eq_u32_e64 v0, v16
; %bb.1:
	v_lshlrev_b32_e32 v15, 2, v14
	ds_write_b32 v15, v2
; %bb.2:
	s_or_b32 exec_lo, exec_lo, s0
	s_mov_b32 s0, exec_lo
	s_waitcnt lgkmcnt(0)
	s_barrier
	buffer_gl0_inv
	v_cmpx_gt_u32_e32 8, v0
	s_cbranch_execz .LBB7_4
; %bb.3:
	ds_read_b32 v15, v8
	v_and_b32_e32 v16, 7, v7
	v_cmp_ne_u32_e32 vcc_lo, 0, v16
	s_waitcnt lgkmcnt(0)
	v_mov_b32_dpp v17, v15 row_shr:1 row_mask:0xf bank_mask:0xf
	v_cndmask_b32_e32 v17, 0, v17, vcc_lo
	v_cmp_lt_u32_e32 vcc_lo, 1, v16
	v_add_nc_u32_e32 v15, v17, v15
	v_mov_b32_dpp v17, v15 row_shr:2 row_mask:0xf bank_mask:0xf
	v_cndmask_b32_e32 v17, 0, v17, vcc_lo
	v_cmp_lt_u32_e32 vcc_lo, 3, v16
	v_add_nc_u32_e32 v15, v15, v17
	v_mov_b32_dpp v17, v15 row_shr:4 row_mask:0xf bank_mask:0xf
	v_cndmask_b32_e32 v16, 0, v17, vcc_lo
	v_add_nc_u32_e32 v15, v15, v16
	ds_write_b32 v8, v15
.LBB7_4:
	s_or_b32 exec_lo, exec_lo, s0
	v_mov_b32_e32 v8, 0
	v_mov_b32_e32 v15, 0
	s_mov_b32 s0, exec_lo
	s_waitcnt lgkmcnt(0)
	s_barrier
	buffer_gl0_inv
	v_cmpx_lt_u32_e32 31, v0
; %bb.5:
	v_lshl_add_u32 v14, v14, 2, -4
	ds_read_b32 v15, v14
; %bb.6:
	s_or_b32 exec_lo, exec_lo, s0
	v_sub_co_u32 v14, vcc_lo, v7, 1
	s_waitcnt lgkmcnt(0)
	v_add_nc_u32_e32 v2, v15, v2
	v_cmp_gt_i32_e64 s0, 0, v14
	v_cndmask_b32_e64 v7, v14, v7, s0
	v_lshlrev_b32_e32 v7, 2, v7
	ds_bpermute_b32 v2, v7, v2
	s_waitcnt lgkmcnt(0)
	v_cndmask_b32_e32 v2, v2, v15, vcc_lo
	v_cmp_eq_u32_e32 vcc_lo, 0, v0
	ds_read_b32 v0, v8 offset:28
	s_waitcnt lgkmcnt(0)
	s_barrier
	buffer_gl0_inv
	v_cndmask_b32_e64 v2, v2, 0, vcc_lo
	v_add_nc_u32_e32 v3, v2, v3
	v_add_nc_u32_e32 v4, v3, v4
	;; [unrolled: 1-line block ×3, first 2 shown]
	ds_write2_b32 v13, v2, v3 offset1:1
	ds_write2_b32 v13, v4, v1 offset0:2 offset1:3
	; wave barrier
	ds_read_b32 v3, v9
	ds_read_b32 v4, v10 offset:128
	ds_read_b32 v7, v11 offset:256
	;; [unrolled: 1-line block ×3, first 2 shown]
	v_add_co_u32 v1, s0, s2, v5
	v_add_co_ci_u32_e64 v2, null, s3, 0, s0
	v_add_co_u32 v1, s0, v1, v6
	v_add_co_ci_u32_e64 v2, null, 0, v2, s0
	s_waitcnt lgkmcnt(3)
	global_store_dword v[1:2], v3, off
	s_waitcnt lgkmcnt(2)
	global_store_dword v[1:2], v4, off offset:128
	s_waitcnt lgkmcnt(1)
	global_store_dword v[1:2], v7, off offset:256
	;; [unrolled: 2-line block ×3, first 2 shown]
	s_and_saveexec_b32 s0, vcc_lo
	s_cbranch_execz .LBB7_8
; %bb.7:
	v_mov_b32_e32 v1, 0x1000
	global_store_dword v1, v0, s[2:3]
.LBB7_8:
	s_endpgm
	.section	.rodata,"a",@progbits
	.p2align	6, 0x0
	.amdhsa_kernel _Z20BlockPrefixSumKernelILi256ELi4ELN6hipcub16HIPCUB_304000_NS18BlockScanAlgorithmE0EEvPKiPi
		.amdhsa_group_segment_fixed_size 4224
		.amdhsa_private_segment_fixed_size 0
		.amdhsa_kernarg_size 16
		.amdhsa_user_sgpr_count 6
		.amdhsa_user_sgpr_private_segment_buffer 1
		.amdhsa_user_sgpr_dispatch_ptr 0
		.amdhsa_user_sgpr_queue_ptr 0
		.amdhsa_user_sgpr_kernarg_segment_ptr 1
		.amdhsa_user_sgpr_dispatch_id 0
		.amdhsa_user_sgpr_flat_scratch_init 0
		.amdhsa_user_sgpr_private_segment_size 0
		.amdhsa_wavefront_size32 1
		.amdhsa_uses_dynamic_stack 0
		.amdhsa_system_sgpr_private_segment_wavefront_offset 0
		.amdhsa_system_sgpr_workgroup_id_x 1
		.amdhsa_system_sgpr_workgroup_id_y 0
		.amdhsa_system_sgpr_workgroup_id_z 0
		.amdhsa_system_sgpr_workgroup_info 0
		.amdhsa_system_vgpr_workitem_id 0
		.amdhsa_next_free_vgpr 18
		.amdhsa_next_free_sgpr 6
		.amdhsa_reserve_vcc 1
		.amdhsa_reserve_flat_scratch 0
		.amdhsa_float_round_mode_32 0
		.amdhsa_float_round_mode_16_64 0
		.amdhsa_float_denorm_mode_32 3
		.amdhsa_float_denorm_mode_16_64 3
		.amdhsa_dx10_clamp 1
		.amdhsa_ieee_mode 1
		.amdhsa_fp16_overflow 0
		.amdhsa_workgroup_processor_mode 1
		.amdhsa_memory_ordered 1
		.amdhsa_forward_progress 1
		.amdhsa_shared_vgpr_count 0
		.amdhsa_exception_fp_ieee_invalid_op 0
		.amdhsa_exception_fp_denorm_src 0
		.amdhsa_exception_fp_ieee_div_zero 0
		.amdhsa_exception_fp_ieee_overflow 0
		.amdhsa_exception_fp_ieee_underflow 0
		.amdhsa_exception_fp_ieee_inexact 0
		.amdhsa_exception_int_div_zero 0
	.end_amdhsa_kernel
	.section	.text._Z20BlockPrefixSumKernelILi256ELi4ELN6hipcub16HIPCUB_304000_NS18BlockScanAlgorithmE0EEvPKiPi,"axG",@progbits,_Z20BlockPrefixSumKernelILi256ELi4ELN6hipcub16HIPCUB_304000_NS18BlockScanAlgorithmE0EEvPKiPi,comdat
.Lfunc_end7:
	.size	_Z20BlockPrefixSumKernelILi256ELi4ELN6hipcub16HIPCUB_304000_NS18BlockScanAlgorithmE0EEvPKiPi, .Lfunc_end7-_Z20BlockPrefixSumKernelILi256ELi4ELN6hipcub16HIPCUB_304000_NS18BlockScanAlgorithmE0EEvPKiPi
                                        ; -- End function
	.set _Z20BlockPrefixSumKernelILi256ELi4ELN6hipcub16HIPCUB_304000_NS18BlockScanAlgorithmE0EEvPKiPi.num_vgpr, 18
	.set _Z20BlockPrefixSumKernelILi256ELi4ELN6hipcub16HIPCUB_304000_NS18BlockScanAlgorithmE0EEvPKiPi.num_agpr, 0
	.set _Z20BlockPrefixSumKernelILi256ELi4ELN6hipcub16HIPCUB_304000_NS18BlockScanAlgorithmE0EEvPKiPi.numbered_sgpr, 6
	.set _Z20BlockPrefixSumKernelILi256ELi4ELN6hipcub16HIPCUB_304000_NS18BlockScanAlgorithmE0EEvPKiPi.num_named_barrier, 0
	.set _Z20BlockPrefixSumKernelILi256ELi4ELN6hipcub16HIPCUB_304000_NS18BlockScanAlgorithmE0EEvPKiPi.private_seg_size, 0
	.set _Z20BlockPrefixSumKernelILi256ELi4ELN6hipcub16HIPCUB_304000_NS18BlockScanAlgorithmE0EEvPKiPi.uses_vcc, 1
	.set _Z20BlockPrefixSumKernelILi256ELi4ELN6hipcub16HIPCUB_304000_NS18BlockScanAlgorithmE0EEvPKiPi.uses_flat_scratch, 0
	.set _Z20BlockPrefixSumKernelILi256ELi4ELN6hipcub16HIPCUB_304000_NS18BlockScanAlgorithmE0EEvPKiPi.has_dyn_sized_stack, 0
	.set _Z20BlockPrefixSumKernelILi256ELi4ELN6hipcub16HIPCUB_304000_NS18BlockScanAlgorithmE0EEvPKiPi.has_recursion, 0
	.set _Z20BlockPrefixSumKernelILi256ELi4ELN6hipcub16HIPCUB_304000_NS18BlockScanAlgorithmE0EEvPKiPi.has_indirect_call, 0
	.section	.AMDGPU.csdata,"",@progbits
; Kernel info:
; codeLenInByte = 868
; TotalNumSgprs: 8
; NumVgprs: 18
; ScratchSize: 0
; MemoryBound: 0
; FloatMode: 240
; IeeeMode: 1
; LDSByteSize: 4224 bytes/workgroup (compile time only)
; SGPRBlocks: 0
; VGPRBlocks: 2
; NumSGPRsForWavesPerEU: 8
; NumVGPRsForWavesPerEU: 18
; Occupancy: 16
; WaveLimiterHint : 1
; COMPUTE_PGM_RSRC2:SCRATCH_EN: 0
; COMPUTE_PGM_RSRC2:USER_SGPR: 6
; COMPUTE_PGM_RSRC2:TRAP_HANDLER: 0
; COMPUTE_PGM_RSRC2:TGID_X_EN: 1
; COMPUTE_PGM_RSRC2:TGID_Y_EN: 0
; COMPUTE_PGM_RSRC2:TGID_Z_EN: 0
; COMPUTE_PGM_RSRC2:TIDIG_COMP_CNT: 0
	.section	.text._Z20BlockPrefixSumKernelILi128ELi8ELN6hipcub16HIPCUB_304000_NS18BlockScanAlgorithmE0EEvPKiPi,"axG",@progbits,_Z20BlockPrefixSumKernelILi128ELi8ELN6hipcub16HIPCUB_304000_NS18BlockScanAlgorithmE0EEvPKiPi,comdat
	.protected	_Z20BlockPrefixSumKernelILi128ELi8ELN6hipcub16HIPCUB_304000_NS18BlockScanAlgorithmE0EEvPKiPi ; -- Begin function _Z20BlockPrefixSumKernelILi128ELi8ELN6hipcub16HIPCUB_304000_NS18BlockScanAlgorithmE0EEvPKiPi
	.globl	_Z20BlockPrefixSumKernelILi128ELi8ELN6hipcub16HIPCUB_304000_NS18BlockScanAlgorithmE0EEvPKiPi
	.p2align	8
	.type	_Z20BlockPrefixSumKernelILi128ELi8ELN6hipcub16HIPCUB_304000_NS18BlockScanAlgorithmE0EEvPKiPi,@function
_Z20BlockPrefixSumKernelILi128ELi8ELN6hipcub16HIPCUB_304000_NS18BlockScanAlgorithmE0EEvPKiPi: ; @_Z20BlockPrefixSumKernelILi128ELi8ELN6hipcub16HIPCUB_304000_NS18BlockScanAlgorithmE0EEvPKiPi
; %bb.0:
	s_load_dwordx4 s[0:3], s[4:5], 0x0
	v_lshlrev_b32_e32 v1, 3, v0
	v_mbcnt_lo_u32_b32 v11, -1, 0
	v_and_b32_e32 v23, 0x3e0, v0
	v_and_b32_e32 v3, 0x1f00, v1
	v_lshlrev_b32_e32 v9, 2, v11
	v_lshlrev_b32_e32 v10, 2, v3
	v_or_b32_e32 v12, v11, v3
	v_or_b32_e32 v14, 32, v3
	;; [unrolled: 1-line block ×5, first 2 shown]
	v_lshrrev_b32_e32 v13, 3, v3
	v_or_b32_e32 v18, 0xa0, v3
	v_or_b32_e32 v19, 0xc0, v3
	s_waitcnt lgkmcnt(0)
	v_add_co_u32 v1, s0, s0, v9
	v_add_co_ci_u32_e64 v2, null, s1, 0, s0
	v_or_b32_e32 v3, 0xe0, v3
	v_add_co_u32 v1, vcc_lo, v1, v10
	v_add_co_ci_u32_e64 v2, null, 0, v2, vcc_lo
	v_lshlrev_b32_e32 v24, 2, v12
	v_lshrrev_b32_e32 v14, 3, v14
	v_lshrrev_b32_e32 v15, 3, v15
	s_clause 0x7
	global_load_dword v4, v[1:2], off
	global_load_dword v5, v[1:2], off offset:128
	global_load_dword v6, v[1:2], off offset:256
	;; [unrolled: 1-line block ×7, first 2 shown]
	v_or_b32_e32 v2, v11, v23
	v_lshrrev_b32_e32 v16, 3, v16
	v_lshrrev_b32_e32 v17, 3, v17
	;; [unrolled: 1-line block ×4, first 2 shown]
	v_lshlrev_b32_e32 v20, 3, v2
	v_bfe_u32 v2, v2, 2, 27
	v_lshrrev_b32_e32 v3, 3, v3
	v_add_nc_u32_e32 v12, v13, v24
	v_add_nc_u32_e32 v13, v14, v24
	;; [unrolled: 1-line block ×3, first 2 shown]
	v_add_lshl_u32 v20, v2, v20, 2
	v_add_nc_u32_e32 v15, v16, v24
	v_add_nc_u32_e32 v16, v17, v24
	;; [unrolled: 1-line block ×5, first 2 shown]
	v_min_u32_e32 v23, 0x60, v23
	s_mov_b32 s0, exec_lo
	s_waitcnt vmcnt(7)
	ds_write_b32 v12, v4
	s_waitcnt vmcnt(6)
	ds_write_b32 v13, v5 offset:128
	s_waitcnt vmcnt(5)
	ds_write_b32 v14, v6 offset:256
	;; [unrolled: 2-line block ×7, first 2 shown]
	; wave barrier
	ds_read2_b32 v[7:8], v20 offset1:1
	ds_read2_b32 v[5:6], v20 offset0:2 offset1:3
	ds_read2_b32 v[3:4], v20 offset0:4 offset1:5
	ds_read2_b32 v[1:2], v20 offset0:6 offset1:7
	v_or_b32_e32 v23, 31, v23
	s_waitcnt lgkmcnt(0)
	s_barrier
	buffer_gl0_inv
	v_add_nc_u32_e32 v21, v8, v7
	v_add3_u32 v21, v21, v5, v6
	v_add3_u32 v21, v21, v3, v4
	;; [unrolled: 1-line block ×3, first 2 shown]
	v_and_b32_e32 v21, 15, v11
	v_mov_b32_dpp v22, v2 row_shr:1 row_mask:0xf bank_mask:0xf
	v_cmp_ne_u32_e32 vcc_lo, 0, v21
	v_cndmask_b32_e32 v22, 0, v22, vcc_lo
	v_cmp_lt_u32_e32 vcc_lo, 1, v21
	v_add_nc_u32_e32 v2, v22, v2
	v_mov_b32_dpp v22, v2 row_shr:2 row_mask:0xf bank_mask:0xf
	v_cndmask_b32_e32 v22, 0, v22, vcc_lo
	v_cmp_lt_u32_e32 vcc_lo, 3, v21
	v_add_nc_u32_e32 v2, v2, v22
	v_mov_b32_dpp v22, v2 row_shr:4 row_mask:0xf bank_mask:0xf
	v_cndmask_b32_e32 v22, 0, v22, vcc_lo
	v_cmp_lt_u32_e32 vcc_lo, 7, v21
	v_add_nc_u32_e32 v2, v2, v22
	v_mov_b32_dpp v22, v2 row_shr:8 row_mask:0xf bank_mask:0xf
	v_cndmask_b32_e32 v21, 0, v22, vcc_lo
	v_bfe_i32 v22, v11, 4, 1
	v_add_nc_u32_e32 v2, v2, v21
	ds_swizzle_b32 v21, v2 offset:swizzle(BROADCAST,32,15)
	s_waitcnt lgkmcnt(0)
	v_and_b32_e32 v22, v22, v21
	v_lshrrev_b32_e32 v21, 5, v0
	v_add_nc_u32_e32 v2, v2, v22
	v_cmpx_eq_u32_e64 v0, v23
; %bb.1:
	v_lshlrev_b32_e32 v22, 2, v21
	ds_write_b32 v22, v2
; %bb.2:
	s_or_b32 exec_lo, exec_lo, s0
	s_mov_b32 s0, exec_lo
	s_waitcnt lgkmcnt(0)
	s_barrier
	buffer_gl0_inv
	v_cmpx_gt_u32_e32 4, v0
	s_cbranch_execz .LBB8_4
; %bb.3:
	v_lshlrev_b32_e32 v22, 2, v0
	v_and_b32_e32 v24, 3, v11
	ds_read_b32 v23, v22
	v_cmp_ne_u32_e32 vcc_lo, 0, v24
	s_waitcnt lgkmcnt(0)
	v_mov_b32_dpp v25, v23 row_shr:1 row_mask:0xf bank_mask:0xf
	v_cndmask_b32_e32 v25, 0, v25, vcc_lo
	v_cmp_lt_u32_e32 vcc_lo, 1, v24
	v_add_nc_u32_e32 v23, v25, v23
	v_mov_b32_dpp v25, v23 row_shr:2 row_mask:0xf bank_mask:0xf
	v_cndmask_b32_e32 v24, 0, v25, vcc_lo
	v_add_nc_u32_e32 v23, v23, v24
	ds_write_b32 v22, v23
.LBB8_4:
	s_or_b32 exec_lo, exec_lo, s0
	v_mov_b32_e32 v22, 0
	v_mov_b32_e32 v23, 0
	s_mov_b32 s0, exec_lo
	s_waitcnt lgkmcnt(0)
	s_barrier
	buffer_gl0_inv
	v_cmpx_lt_u32_e32 31, v0
; %bb.5:
	v_lshl_add_u32 v21, v21, 2, -4
	ds_read_b32 v23, v21
; %bb.6:
	s_or_b32 exec_lo, exec_lo, s0
	v_sub_co_u32 v21, vcc_lo, v11, 1
	s_waitcnt lgkmcnt(0)
	v_add_nc_u32_e32 v2, v23, v2
	v_cmp_gt_i32_e64 s0, 0, v21
	v_cndmask_b32_e64 v11, v21, v11, s0
	v_lshlrev_b32_e32 v11, 2, v11
	ds_bpermute_b32 v2, v11, v2
	s_waitcnt lgkmcnt(0)
	v_cndmask_b32_e32 v2, v2, v23, vcc_lo
	v_cmp_eq_u32_e32 vcc_lo, 0, v0
	ds_read_b32 v0, v22 offset:12
	s_waitcnt lgkmcnt(0)
	s_barrier
	buffer_gl0_inv
	v_cndmask_b32_e64 v2, v2, 0, vcc_lo
	v_add_nc_u32_e32 v7, v2, v7
	v_add_nc_u32_e32 v8, v7, v8
	;; [unrolled: 1-line block ×7, first 2 shown]
	ds_write2_b32 v20, v2, v7 offset1:1
	ds_write2_b32 v20, v8, v5 offset0:2 offset1:3
	ds_write2_b32 v20, v6, v3 offset0:4 offset1:5
	;; [unrolled: 1-line block ×3, first 2 shown]
	; wave barrier
	ds_read_b32 v3, v12
	ds_read_b32 v4, v13 offset:128
	ds_read_b32 v5, v14 offset:256
	;; [unrolled: 1-line block ×7, first 2 shown]
	v_add_co_u32 v1, s0, s2, v9
	v_add_co_ci_u32_e64 v2, null, s3, 0, s0
	v_add_co_u32 v1, s0, v1, v10
	v_add_co_ci_u32_e64 v2, null, 0, v2, s0
	s_waitcnt lgkmcnt(7)
	global_store_dword v[1:2], v3, off
	s_waitcnt lgkmcnt(6)
	global_store_dword v[1:2], v4, off offset:128
	s_waitcnt lgkmcnt(5)
	global_store_dword v[1:2], v5, off offset:256
	;; [unrolled: 2-line block ×7, first 2 shown]
	s_and_saveexec_b32 s0, vcc_lo
	s_cbranch_execz .LBB8_8
; %bb.7:
	v_mov_b32_e32 v1, 0x1000
	global_store_dword v1, v0, s[2:3]
.LBB8_8:
	s_endpgm
	.section	.rodata,"a",@progbits
	.p2align	6, 0x0
	.amdhsa_kernel _Z20BlockPrefixSumKernelILi128ELi8ELN6hipcub16HIPCUB_304000_NS18BlockScanAlgorithmE0EEvPKiPi
		.amdhsa_group_segment_fixed_size 4224
		.amdhsa_private_segment_fixed_size 0
		.amdhsa_kernarg_size 16
		.amdhsa_user_sgpr_count 6
		.amdhsa_user_sgpr_private_segment_buffer 1
		.amdhsa_user_sgpr_dispatch_ptr 0
		.amdhsa_user_sgpr_queue_ptr 0
		.amdhsa_user_sgpr_kernarg_segment_ptr 1
		.amdhsa_user_sgpr_dispatch_id 0
		.amdhsa_user_sgpr_flat_scratch_init 0
		.amdhsa_user_sgpr_private_segment_size 0
		.amdhsa_wavefront_size32 1
		.amdhsa_uses_dynamic_stack 0
		.amdhsa_system_sgpr_private_segment_wavefront_offset 0
		.amdhsa_system_sgpr_workgroup_id_x 1
		.amdhsa_system_sgpr_workgroup_id_y 0
		.amdhsa_system_sgpr_workgroup_id_z 0
		.amdhsa_system_sgpr_workgroup_info 0
		.amdhsa_system_vgpr_workitem_id 0
		.amdhsa_next_free_vgpr 26
		.amdhsa_next_free_sgpr 6
		.amdhsa_reserve_vcc 1
		.amdhsa_reserve_flat_scratch 0
		.amdhsa_float_round_mode_32 0
		.amdhsa_float_round_mode_16_64 0
		.amdhsa_float_denorm_mode_32 3
		.amdhsa_float_denorm_mode_16_64 3
		.amdhsa_dx10_clamp 1
		.amdhsa_ieee_mode 1
		.amdhsa_fp16_overflow 0
		.amdhsa_workgroup_processor_mode 1
		.amdhsa_memory_ordered 1
		.amdhsa_forward_progress 1
		.amdhsa_shared_vgpr_count 0
		.amdhsa_exception_fp_ieee_invalid_op 0
		.amdhsa_exception_fp_denorm_src 0
		.amdhsa_exception_fp_ieee_div_zero 0
		.amdhsa_exception_fp_ieee_overflow 0
		.amdhsa_exception_fp_ieee_underflow 0
		.amdhsa_exception_fp_ieee_inexact 0
		.amdhsa_exception_int_div_zero 0
	.end_amdhsa_kernel
	.section	.text._Z20BlockPrefixSumKernelILi128ELi8ELN6hipcub16HIPCUB_304000_NS18BlockScanAlgorithmE0EEvPKiPi,"axG",@progbits,_Z20BlockPrefixSumKernelILi128ELi8ELN6hipcub16HIPCUB_304000_NS18BlockScanAlgorithmE0EEvPKiPi,comdat
.Lfunc_end8:
	.size	_Z20BlockPrefixSumKernelILi128ELi8ELN6hipcub16HIPCUB_304000_NS18BlockScanAlgorithmE0EEvPKiPi, .Lfunc_end8-_Z20BlockPrefixSumKernelILi128ELi8ELN6hipcub16HIPCUB_304000_NS18BlockScanAlgorithmE0EEvPKiPi
                                        ; -- End function
	.set _Z20BlockPrefixSumKernelILi128ELi8ELN6hipcub16HIPCUB_304000_NS18BlockScanAlgorithmE0EEvPKiPi.num_vgpr, 26
	.set _Z20BlockPrefixSumKernelILi128ELi8ELN6hipcub16HIPCUB_304000_NS18BlockScanAlgorithmE0EEvPKiPi.num_agpr, 0
	.set _Z20BlockPrefixSumKernelILi128ELi8ELN6hipcub16HIPCUB_304000_NS18BlockScanAlgorithmE0EEvPKiPi.numbered_sgpr, 6
	.set _Z20BlockPrefixSumKernelILi128ELi8ELN6hipcub16HIPCUB_304000_NS18BlockScanAlgorithmE0EEvPKiPi.num_named_barrier, 0
	.set _Z20BlockPrefixSumKernelILi128ELi8ELN6hipcub16HIPCUB_304000_NS18BlockScanAlgorithmE0EEvPKiPi.private_seg_size, 0
	.set _Z20BlockPrefixSumKernelILi128ELi8ELN6hipcub16HIPCUB_304000_NS18BlockScanAlgorithmE0EEvPKiPi.uses_vcc, 1
	.set _Z20BlockPrefixSumKernelILi128ELi8ELN6hipcub16HIPCUB_304000_NS18BlockScanAlgorithmE0EEvPKiPi.uses_flat_scratch, 0
	.set _Z20BlockPrefixSumKernelILi128ELi8ELN6hipcub16HIPCUB_304000_NS18BlockScanAlgorithmE0EEvPKiPi.has_dyn_sized_stack, 0
	.set _Z20BlockPrefixSumKernelILi128ELi8ELN6hipcub16HIPCUB_304000_NS18BlockScanAlgorithmE0EEvPKiPi.has_recursion, 0
	.set _Z20BlockPrefixSumKernelILi128ELi8ELN6hipcub16HIPCUB_304000_NS18BlockScanAlgorithmE0EEvPKiPi.has_indirect_call, 0
	.section	.AMDGPU.csdata,"",@progbits
; Kernel info:
; codeLenInByte = 1140
; TotalNumSgprs: 8
; NumVgprs: 26
; ScratchSize: 0
; MemoryBound: 0
; FloatMode: 240
; IeeeMode: 1
; LDSByteSize: 4224 bytes/workgroup (compile time only)
; SGPRBlocks: 0
; VGPRBlocks: 3
; NumSGPRsForWavesPerEU: 8
; NumVGPRsForWavesPerEU: 26
; Occupancy: 16
; WaveLimiterHint : 1
; COMPUTE_PGM_RSRC2:SCRATCH_EN: 0
; COMPUTE_PGM_RSRC2:USER_SGPR: 6
; COMPUTE_PGM_RSRC2:TRAP_HANDLER: 0
; COMPUTE_PGM_RSRC2:TGID_X_EN: 1
; COMPUTE_PGM_RSRC2:TGID_Y_EN: 0
; COMPUTE_PGM_RSRC2:TGID_Z_EN: 0
; COMPUTE_PGM_RSRC2:TIDIG_COMP_CNT: 0
	.section	.text._Z20BlockPrefixSumKernelILi64ELi16ELN6hipcub16HIPCUB_304000_NS18BlockScanAlgorithmE0EEvPKiPi,"axG",@progbits,_Z20BlockPrefixSumKernelILi64ELi16ELN6hipcub16HIPCUB_304000_NS18BlockScanAlgorithmE0EEvPKiPi,comdat
	.protected	_Z20BlockPrefixSumKernelILi64ELi16ELN6hipcub16HIPCUB_304000_NS18BlockScanAlgorithmE0EEvPKiPi ; -- Begin function _Z20BlockPrefixSumKernelILi64ELi16ELN6hipcub16HIPCUB_304000_NS18BlockScanAlgorithmE0EEvPKiPi
	.globl	_Z20BlockPrefixSumKernelILi64ELi16ELN6hipcub16HIPCUB_304000_NS18BlockScanAlgorithmE0EEvPKiPi
	.p2align	8
	.type	_Z20BlockPrefixSumKernelILi64ELi16ELN6hipcub16HIPCUB_304000_NS18BlockScanAlgorithmE0EEvPKiPi,@function
_Z20BlockPrefixSumKernelILi64ELi16ELN6hipcub16HIPCUB_304000_NS18BlockScanAlgorithmE0EEvPKiPi: ; @_Z20BlockPrefixSumKernelILi64ELi16ELN6hipcub16HIPCUB_304000_NS18BlockScanAlgorithmE0EEvPKiPi
; %bb.0:
	s_load_dwordx4 s[0:3], s[4:5], 0x0
	v_lshlrev_b32_e32 v1, 4, v0
	v_mbcnt_lo_u32_b32 v19, -1, 0
	v_and_b32_e32 v39, 0x3e0, v0
	v_and_b32_e32 v3, 0x3e00, v1
	v_lshlrev_b32_e32 v18, 2, v19
	v_lshlrev_b32_e32 v17, 2, v3
	v_or_b32_e32 v20, v19, v3
	v_or_b32_e32 v22, 32, v3
	;; [unrolled: 1-line block ×5, first 2 shown]
	v_lshrrev_b32_e32 v21, 3, v3
	v_or_b32_e32 v26, 0xa0, v3
	v_or_b32_e32 v27, 0xc0, v3
	s_waitcnt lgkmcnt(0)
	v_add_co_u32 v1, s0, s0, v18
	v_add_co_ci_u32_e64 v2, null, s1, 0, s0
	v_or_b32_e32 v28, 0xe0, v3
	v_add_co_u32 v1, vcc_lo, v1, v17
	v_add_co_ci_u32_e64 v2, null, 0, v2, vcc_lo
	v_or_b32_e32 v29, 0x100, v3
	v_or_b32_e32 v30, 0x120, v3
	;; [unrolled: 1-line block ×3, first 2 shown]
	s_clause 0xf
	global_load_dword v4, v[1:2], off
	global_load_dword v5, v[1:2], off offset:128
	global_load_dword v6, v[1:2], off offset:256
	;; [unrolled: 1-line block ×15, first 2 shown]
	v_or_b32_e32 v2, v19, v39
	v_or_b32_e32 v32, 0x160, v3
	;; [unrolled: 1-line block ×6, first 2 shown]
	v_lshlrev_b32_e32 v36, 4, v2
	v_bfe_u32 v2, v2, 1, 27
	v_lshlrev_b32_e32 v40, 2, v20
	v_lshrrev_b32_e32 v22, 3, v22
	v_lshrrev_b32_e32 v23, 3, v23
	;; [unrolled: 1-line block ×15, first 2 shown]
	v_add_lshl_u32 v36, v2, v36, 2
	v_add_nc_u32_e32 v20, v21, v40
	v_add_nc_u32_e32 v21, v22, v40
	;; [unrolled: 1-line block ×16, first 2 shown]
	v_min_u32_e32 v39, 32, v39
	s_mov_b32 s0, exec_lo
	s_waitcnt vmcnt(15)
	ds_write_b32 v20, v4
	s_waitcnt vmcnt(14)
	ds_write_b32 v21, v5 offset:128
	s_waitcnt vmcnt(13)
	ds_write_b32 v22, v6 offset:256
	;; [unrolled: 2-line block ×15, first 2 shown]
	; wave barrier
	ds_read2_b32 v[11:12], v36 offset1:1
	ds_read2_b32 v[9:10], v36 offset0:2 offset1:3
	ds_read2_b32 v[5:6], v36 offset0:4 offset1:5
	;; [unrolled: 1-line block ×5, first 2 shown]
	v_or_b32_e32 v39, 31, v39
	s_waitcnt lgkmcnt(5)
	v_add_nc_u32_e32 v1, v12, v11
	s_waitcnt lgkmcnt(4)
	v_add3_u32 v1, v1, v9, v10
	s_waitcnt lgkmcnt(3)
	v_add3_u32 v37, v1, v5, v6
	ds_read2_b32 v[7:8], v36 offset0:12 offset1:13
	ds_read2_b32 v[1:2], v36 offset0:14 offset1:15
	s_waitcnt lgkmcnt(0)
	s_barrier
	buffer_gl0_inv
	v_add3_u32 v37, v37, v3, v4
	v_add3_u32 v37, v37, v13, v14
	;; [unrolled: 1-line block ×5, first 2 shown]
	v_and_b32_e32 v37, 15, v19
	v_mov_b32_dpp v38, v2 row_shr:1 row_mask:0xf bank_mask:0xf
	v_cmp_ne_u32_e32 vcc_lo, 0, v37
	v_cndmask_b32_e32 v38, 0, v38, vcc_lo
	v_cmp_lt_u32_e32 vcc_lo, 1, v37
	v_add_nc_u32_e32 v2, v38, v2
	v_mov_b32_dpp v38, v2 row_shr:2 row_mask:0xf bank_mask:0xf
	v_cndmask_b32_e32 v38, 0, v38, vcc_lo
	v_cmp_lt_u32_e32 vcc_lo, 3, v37
	v_add_nc_u32_e32 v2, v2, v38
	v_mov_b32_dpp v38, v2 row_shr:4 row_mask:0xf bank_mask:0xf
	;; [unrolled: 4-line block ×3, first 2 shown]
	v_cndmask_b32_e32 v37, 0, v38, vcc_lo
	v_bfe_i32 v38, v19, 4, 1
	v_add_nc_u32_e32 v2, v2, v37
	ds_swizzle_b32 v37, v2 offset:swizzle(BROADCAST,32,15)
	s_waitcnt lgkmcnt(0)
	v_and_b32_e32 v38, v38, v37
	v_lshrrev_b32_e32 v37, 5, v0
	v_add_nc_u32_e32 v2, v2, v38
	v_cmpx_eq_u32_e64 v0, v39
; %bb.1:
	v_lshlrev_b32_e32 v38, 2, v37
	ds_write_b32 v38, v2
; %bb.2:
	s_or_b32 exec_lo, exec_lo, s0
	s_mov_b32 s0, exec_lo
	s_waitcnt lgkmcnt(0)
	s_barrier
	buffer_gl0_inv
	v_cmpx_gt_u32_e32 2, v0
	s_cbranch_execz .LBB9_4
; %bb.3:
	v_lshlrev_b32_e32 v38, 2, v0
	v_bfe_i32 v40, v19, 0, 1
	ds_read_b32 v39, v38
	s_waitcnt lgkmcnt(0)
	v_mov_b32_dpp v41, v39 row_shr:1 row_mask:0xf bank_mask:0xf
	v_and_b32_e32 v40, v40, v41
	v_add_nc_u32_e32 v39, v40, v39
	ds_write_b32 v38, v39
.LBB9_4:
	s_or_b32 exec_lo, exec_lo, s0
	v_mov_b32_e32 v38, 0
	v_mov_b32_e32 v39, 0
	s_mov_b32 s0, exec_lo
	s_waitcnt lgkmcnt(0)
	s_barrier
	buffer_gl0_inv
	v_cmpx_lt_u32_e32 31, v0
; %bb.5:
	v_lshl_add_u32 v37, v37, 2, -4
	ds_read_b32 v39, v37
; %bb.6:
	s_or_b32 exec_lo, exec_lo, s0
	v_sub_co_u32 v37, vcc_lo, v19, 1
	s_waitcnt lgkmcnt(0)
	v_add_nc_u32_e32 v2, v39, v2
	v_cmp_gt_i32_e64 s0, 0, v37
	v_cndmask_b32_e64 v19, v37, v19, s0
	v_add_co_u32 v18, s0, s2, v18
	v_lshlrev_b32_e32 v19, 2, v19
	ds_bpermute_b32 v2, v19, v2
	v_add_co_ci_u32_e64 v19, null, s3, 0, s0
	s_waitcnt lgkmcnt(0)
	v_cndmask_b32_e32 v2, v2, v39, vcc_lo
	v_cmp_eq_u32_e32 vcc_lo, 0, v0
	ds_read_b32 v0, v38 offset:4
	s_waitcnt lgkmcnt(0)
	s_barrier
	buffer_gl0_inv
	v_cndmask_b32_e64 v2, v2, 0, vcc_lo
	v_add_nc_u32_e32 v11, v2, v11
	v_add_nc_u32_e32 v12, v11, v12
	;; [unrolled: 1-line block ×5, first 2 shown]
	ds_write2_b32 v36, v2, v11 offset1:1
	ds_write2_b32 v36, v12, v9 offset0:2 offset1:3
	ds_write2_b32 v36, v10, v5 offset0:4 offset1:5
	v_add_nc_u32_e32 v6, v5, v6
	v_add_nc_u32_e32 v3, v6, v3
	;; [unrolled: 1-line block ×10, first 2 shown]
	ds_write2_b32 v36, v6, v3 offset0:6 offset1:7
	ds_write2_b32 v36, v4, v13 offset0:8 offset1:9
	;; [unrolled: 1-line block ×5, first 2 shown]
	; wave barrier
	ds_read_b32 v3, v20
	ds_read_b32 v4, v21 offset:128
	ds_read_b32 v5, v22 offset:256
	;; [unrolled: 1-line block ×15, first 2 shown]
	v_add_co_u32 v1, s0, v18, v17
	v_add_co_ci_u32_e64 v2, null, 0, v19, s0
	s_waitcnt lgkmcnt(15)
	global_store_dword v[1:2], v3, off
	s_waitcnt lgkmcnt(14)
	global_store_dword v[1:2], v4, off offset:128
	s_waitcnt lgkmcnt(13)
	global_store_dword v[1:2], v5, off offset:256
	s_waitcnt lgkmcnt(12)
	global_store_dword v[1:2], v6, off offset:384
	s_waitcnt lgkmcnt(11)
	global_store_dword v[1:2], v7, off offset:512
	s_waitcnt lgkmcnt(10)
	global_store_dword v[1:2], v8, off offset:640
	s_waitcnt lgkmcnt(9)
	global_store_dword v[1:2], v9, off offset:768
	s_waitcnt lgkmcnt(8)
	global_store_dword v[1:2], v10, off offset:896
	s_waitcnt lgkmcnt(7)
	global_store_dword v[1:2], v11, off offset:1024
	s_waitcnt lgkmcnt(6)
	global_store_dword v[1:2], v12, off offset:1152
	s_waitcnt lgkmcnt(5)
	global_store_dword v[1:2], v13, off offset:1280
	s_waitcnt lgkmcnt(4)
	global_store_dword v[1:2], v14, off offset:1408
	s_waitcnt lgkmcnt(3)
	global_store_dword v[1:2], v15, off offset:1536
	s_waitcnt lgkmcnt(2)
	global_store_dword v[1:2], v16, off offset:1664
	s_waitcnt lgkmcnt(1)
	global_store_dword v[1:2], v20, off offset:1792
	s_waitcnt lgkmcnt(0)
	global_store_dword v[1:2], v21, off offset:1920
	s_and_saveexec_b32 s0, vcc_lo
	s_cbranch_execz .LBB9_8
; %bb.7:
	v_mov_b32_e32 v1, 0x1000
	global_store_dword v1, v0, s[2:3]
.LBB9_8:
	s_endpgm
	.section	.rodata,"a",@progbits
	.p2align	6, 0x0
	.amdhsa_kernel _Z20BlockPrefixSumKernelILi64ELi16ELN6hipcub16HIPCUB_304000_NS18BlockScanAlgorithmE0EEvPKiPi
		.amdhsa_group_segment_fixed_size 4224
		.amdhsa_private_segment_fixed_size 0
		.amdhsa_kernarg_size 16
		.amdhsa_user_sgpr_count 6
		.amdhsa_user_sgpr_private_segment_buffer 1
		.amdhsa_user_sgpr_dispatch_ptr 0
		.amdhsa_user_sgpr_queue_ptr 0
		.amdhsa_user_sgpr_kernarg_segment_ptr 1
		.amdhsa_user_sgpr_dispatch_id 0
		.amdhsa_user_sgpr_flat_scratch_init 0
		.amdhsa_user_sgpr_private_segment_size 0
		.amdhsa_wavefront_size32 1
		.amdhsa_uses_dynamic_stack 0
		.amdhsa_system_sgpr_private_segment_wavefront_offset 0
		.amdhsa_system_sgpr_workgroup_id_x 1
		.amdhsa_system_sgpr_workgroup_id_y 0
		.amdhsa_system_sgpr_workgroup_id_z 0
		.amdhsa_system_sgpr_workgroup_info 0
		.amdhsa_system_vgpr_workitem_id 0
		.amdhsa_next_free_vgpr 42
		.amdhsa_next_free_sgpr 6
		.amdhsa_reserve_vcc 1
		.amdhsa_reserve_flat_scratch 0
		.amdhsa_float_round_mode_32 0
		.amdhsa_float_round_mode_16_64 0
		.amdhsa_float_denorm_mode_32 3
		.amdhsa_float_denorm_mode_16_64 3
		.amdhsa_dx10_clamp 1
		.amdhsa_ieee_mode 1
		.amdhsa_fp16_overflow 0
		.amdhsa_workgroup_processor_mode 1
		.amdhsa_memory_ordered 1
		.amdhsa_forward_progress 1
		.amdhsa_shared_vgpr_count 0
		.amdhsa_exception_fp_ieee_invalid_op 0
		.amdhsa_exception_fp_denorm_src 0
		.amdhsa_exception_fp_ieee_div_zero 0
		.amdhsa_exception_fp_ieee_overflow 0
		.amdhsa_exception_fp_ieee_underflow 0
		.amdhsa_exception_fp_ieee_inexact 0
		.amdhsa_exception_int_div_zero 0
	.end_amdhsa_kernel
	.section	.text._Z20BlockPrefixSumKernelILi64ELi16ELN6hipcub16HIPCUB_304000_NS18BlockScanAlgorithmE0EEvPKiPi,"axG",@progbits,_Z20BlockPrefixSumKernelILi64ELi16ELN6hipcub16HIPCUB_304000_NS18BlockScanAlgorithmE0EEvPKiPi,comdat
.Lfunc_end9:
	.size	_Z20BlockPrefixSumKernelILi64ELi16ELN6hipcub16HIPCUB_304000_NS18BlockScanAlgorithmE0EEvPKiPi, .Lfunc_end9-_Z20BlockPrefixSumKernelILi64ELi16ELN6hipcub16HIPCUB_304000_NS18BlockScanAlgorithmE0EEvPKiPi
                                        ; -- End function
	.set _Z20BlockPrefixSumKernelILi64ELi16ELN6hipcub16HIPCUB_304000_NS18BlockScanAlgorithmE0EEvPKiPi.num_vgpr, 42
	.set _Z20BlockPrefixSumKernelILi64ELi16ELN6hipcub16HIPCUB_304000_NS18BlockScanAlgorithmE0EEvPKiPi.num_agpr, 0
	.set _Z20BlockPrefixSumKernelILi64ELi16ELN6hipcub16HIPCUB_304000_NS18BlockScanAlgorithmE0EEvPKiPi.numbered_sgpr, 6
	.set _Z20BlockPrefixSumKernelILi64ELi16ELN6hipcub16HIPCUB_304000_NS18BlockScanAlgorithmE0EEvPKiPi.num_named_barrier, 0
	.set _Z20BlockPrefixSumKernelILi64ELi16ELN6hipcub16HIPCUB_304000_NS18BlockScanAlgorithmE0EEvPKiPi.private_seg_size, 0
	.set _Z20BlockPrefixSumKernelILi64ELi16ELN6hipcub16HIPCUB_304000_NS18BlockScanAlgorithmE0EEvPKiPi.uses_vcc, 1
	.set _Z20BlockPrefixSumKernelILi64ELi16ELN6hipcub16HIPCUB_304000_NS18BlockScanAlgorithmE0EEvPKiPi.uses_flat_scratch, 0
	.set _Z20BlockPrefixSumKernelILi64ELi16ELN6hipcub16HIPCUB_304000_NS18BlockScanAlgorithmE0EEvPKiPi.has_dyn_sized_stack, 0
	.set _Z20BlockPrefixSumKernelILi64ELi16ELN6hipcub16HIPCUB_304000_NS18BlockScanAlgorithmE0EEvPKiPi.has_recursion, 0
	.set _Z20BlockPrefixSumKernelILi64ELi16ELN6hipcub16HIPCUB_304000_NS18BlockScanAlgorithmE0EEvPKiPi.has_indirect_call, 0
	.section	.AMDGPU.csdata,"",@progbits
; Kernel info:
; codeLenInByte = 1704
; TotalNumSgprs: 8
; NumVgprs: 42
; ScratchSize: 0
; MemoryBound: 0
; FloatMode: 240
; IeeeMode: 1
; LDSByteSize: 4224 bytes/workgroup (compile time only)
; SGPRBlocks: 0
; VGPRBlocks: 5
; NumSGPRsForWavesPerEU: 8
; NumVGPRsForWavesPerEU: 42
; Occupancy: 16
; WaveLimiterHint : 1
; COMPUTE_PGM_RSRC2:SCRATCH_EN: 0
; COMPUTE_PGM_RSRC2:USER_SGPR: 6
; COMPUTE_PGM_RSRC2:TRAP_HANDLER: 0
; COMPUTE_PGM_RSRC2:TGID_X_EN: 1
; COMPUTE_PGM_RSRC2:TGID_Y_EN: 0
; COMPUTE_PGM_RSRC2:TGID_Z_EN: 0
; COMPUTE_PGM_RSRC2:TIDIG_COMP_CNT: 0
	.section	.AMDGPU.gpr_maximums,"",@progbits
	.set amdgpu.max_num_vgpr, 0
	.set amdgpu.max_num_agpr, 0
	.set amdgpu.max_num_sgpr, 0
	.section	.AMDGPU.csdata,"",@progbits
	.type	__hip_cuid_47a3aef4adcee59c,@object ; @__hip_cuid_47a3aef4adcee59c
	.section	.bss,"aw",@nobits
	.globl	__hip_cuid_47a3aef4adcee59c
__hip_cuid_47a3aef4adcee59c:
	.byte	0                               ; 0x0
	.size	__hip_cuid_47a3aef4adcee59c, 1

	.ident	"AMD clang version 22.0.0git (https://github.com/RadeonOpenCompute/llvm-project roc-7.2.4 26084 f58b06dce1f9c15707c5f808fd002e18c2accf7e)"
	.section	".note.GNU-stack","",@progbits
	.addrsig
	.addrsig_sym __hip_cuid_47a3aef4adcee59c
	.amdgpu_metadata
---
amdhsa.kernels:
  - .args:
      - .address_space:  global
        .offset:         0
        .size:           8
        .value_kind:     global_buffer
      - .address_space:  global
        .offset:         8
        .size:           8
        .value_kind:     global_buffer
    .group_segment_fixed_size: 4224
    .kernarg_segment_align: 8
    .kernarg_segment_size: 16
    .language:       OpenCL C
    .language_version:
      - 2
      - 0
    .max_flat_workgroup_size: 1024
    .name:           _Z20BlockPrefixSumKernelILi1024ELi1ELN6hipcub16HIPCUB_304000_NS18BlockScanAlgorithmE1EEvPKiPi
    .private_segment_fixed_size: 0
    .sgpr_count:     8
    .sgpr_spill_count: 0
    .symbol:         _Z20BlockPrefixSumKernelILi1024ELi1ELN6hipcub16HIPCUB_304000_NS18BlockScanAlgorithmE1EEvPKiPi.kd
    .uniform_work_group_size: 1
    .uses_dynamic_stack: false
    .vgpr_count:     37
    .vgpr_spill_count: 0
    .wavefront_size: 32
    .workgroup_processor_mode: 1
  - .args:
      - .address_space:  global
        .offset:         0
        .size:           8
        .value_kind:     global_buffer
      - .address_space:  global
        .offset:         8
        .size:           8
        .value_kind:     global_buffer
    .group_segment_fixed_size: 4224
    .kernarg_segment_align: 8
    .kernarg_segment_size: 16
    .language:       OpenCL C
    .language_version:
      - 2
      - 0
    .max_flat_workgroup_size: 1024
    .name:           _Z20BlockPrefixSumKernelILi512ELi2ELN6hipcub16HIPCUB_304000_NS18BlockScanAlgorithmE1EEvPKiPi
    .private_segment_fixed_size: 0
    .sgpr_count:     8
    .sgpr_spill_count: 0
    .symbol:         _Z20BlockPrefixSumKernelILi512ELi2ELN6hipcub16HIPCUB_304000_NS18BlockScanAlgorithmE1EEvPKiPi.kd
    .uniform_work_group_size: 1
    .uses_dynamic_stack: false
    .vgpr_count:     24
    .vgpr_spill_count: 0
    .wavefront_size: 32
    .workgroup_processor_mode: 1
  - .args:
      - .address_space:  global
        .offset:         0
        .size:           8
        .value_kind:     global_buffer
      - .address_space:  global
        .offset:         8
        .size:           8
        .value_kind:     global_buffer
    .group_segment_fixed_size: 4224
    .kernarg_segment_align: 8
    .kernarg_segment_size: 16
    .language:       OpenCL C
    .language_version:
      - 2
      - 0
    .max_flat_workgroup_size: 1024
    .name:           _Z20BlockPrefixSumKernelILi256ELi4ELN6hipcub16HIPCUB_304000_NS18BlockScanAlgorithmE1EEvPKiPi
    .private_segment_fixed_size: 0
    .sgpr_count:     8
    .sgpr_spill_count: 0
    .symbol:         _Z20BlockPrefixSumKernelILi256ELi4ELN6hipcub16HIPCUB_304000_NS18BlockScanAlgorithmE1EEvPKiPi.kd
    .uniform_work_group_size: 1
    .uses_dynamic_stack: false
    .vgpr_count:     23
    .vgpr_spill_count: 0
    .wavefront_size: 32
    .workgroup_processor_mode: 1
  - .args:
      - .address_space:  global
        .offset:         0
        .size:           8
        .value_kind:     global_buffer
      - .address_space:  global
        .offset:         8
        .size:           8
        .value_kind:     global_buffer
    .group_segment_fixed_size: 4224
    .kernarg_segment_align: 8
    .kernarg_segment_size: 16
    .language:       OpenCL C
    .language_version:
      - 2
      - 0
    .max_flat_workgroup_size: 1024
    .name:           _Z20BlockPrefixSumKernelILi128ELi8ELN6hipcub16HIPCUB_304000_NS18BlockScanAlgorithmE1EEvPKiPi
    .private_segment_fixed_size: 0
    .sgpr_count:     8
    .sgpr_spill_count: 0
    .symbol:         _Z20BlockPrefixSumKernelILi128ELi8ELN6hipcub16HIPCUB_304000_NS18BlockScanAlgorithmE1EEvPKiPi.kd
    .uniform_work_group_size: 1
    .uses_dynamic_stack: false
    .vgpr_count:     28
    .vgpr_spill_count: 0
    .wavefront_size: 32
    .workgroup_processor_mode: 1
  - .args:
      - .address_space:  global
        .offset:         0
        .size:           8
        .value_kind:     global_buffer
      - .address_space:  global
        .offset:         8
        .size:           8
        .value_kind:     global_buffer
    .group_segment_fixed_size: 4224
    .kernarg_segment_align: 8
    .kernarg_segment_size: 16
    .language:       OpenCL C
    .language_version:
      - 2
      - 0
    .max_flat_workgroup_size: 1024
    .name:           _Z20BlockPrefixSumKernelILi64ELi16ELN6hipcub16HIPCUB_304000_NS18BlockScanAlgorithmE1EEvPKiPi
    .private_segment_fixed_size: 0
    .sgpr_count:     8
    .sgpr_spill_count: 0
    .symbol:         _Z20BlockPrefixSumKernelILi64ELi16ELN6hipcub16HIPCUB_304000_NS18BlockScanAlgorithmE1EEvPKiPi.kd
    .uniform_work_group_size: 1
    .uses_dynamic_stack: false
    .vgpr_count:     44
    .vgpr_spill_count: 0
    .wavefront_size: 32
    .workgroup_processor_mode: 1
  - .args:
      - .address_space:  global
        .offset:         0
        .size:           8
        .value_kind:     global_buffer
      - .address_space:  global
        .offset:         8
        .size:           8
        .value_kind:     global_buffer
    .group_segment_fixed_size: 4096
    .kernarg_segment_align: 8
    .kernarg_segment_size: 16
    .language:       OpenCL C
    .language_version:
      - 2
      - 0
    .max_flat_workgroup_size: 1024
    .name:           _Z20BlockPrefixSumKernelILi1024ELi1ELN6hipcub16HIPCUB_304000_NS18BlockScanAlgorithmE0EEvPKiPi
    .private_segment_fixed_size: 0
    .sgpr_count:     11
    .sgpr_spill_count: 0
    .symbol:         _Z20BlockPrefixSumKernelILi1024ELi1ELN6hipcub16HIPCUB_304000_NS18BlockScanAlgorithmE0EEvPKiPi.kd
    .uniform_work_group_size: 1
    .uses_dynamic_stack: false
    .vgpr_count:     10
    .vgpr_spill_count: 0
    .wavefront_size: 32
    .workgroup_processor_mode: 1
  - .args:
      - .address_space:  global
        .offset:         0
        .size:           8
        .value_kind:     global_buffer
      - .address_space:  global
        .offset:         8
        .size:           8
        .value_kind:     global_buffer
    .group_segment_fixed_size: 4224
    .kernarg_segment_align: 8
    .kernarg_segment_size: 16
    .language:       OpenCL C
    .language_version:
      - 2
      - 0
    .max_flat_workgroup_size: 1024
    .name:           _Z20BlockPrefixSumKernelILi512ELi2ELN6hipcub16HIPCUB_304000_NS18BlockScanAlgorithmE0EEvPKiPi
    .private_segment_fixed_size: 0
    .sgpr_count:     10
    .sgpr_spill_count: 0
    .symbol:         _Z20BlockPrefixSumKernelILi512ELi2ELN6hipcub16HIPCUB_304000_NS18BlockScanAlgorithmE0EEvPKiPi.kd
    .uniform_work_group_size: 1
    .uses_dynamic_stack: false
    .vgpr_count:     13
    .vgpr_spill_count: 0
    .wavefront_size: 32
    .workgroup_processor_mode: 1
  - .args:
      - .address_space:  global
        .offset:         0
        .size:           8
        .value_kind:     global_buffer
      - .address_space:  global
        .offset:         8
        .size:           8
        .value_kind:     global_buffer
    .group_segment_fixed_size: 4224
    .kernarg_segment_align: 8
    .kernarg_segment_size: 16
    .language:       OpenCL C
    .language_version:
      - 2
      - 0
    .max_flat_workgroup_size: 1024
    .name:           _Z20BlockPrefixSumKernelILi256ELi4ELN6hipcub16HIPCUB_304000_NS18BlockScanAlgorithmE0EEvPKiPi
    .private_segment_fixed_size: 0
    .sgpr_count:     8
    .sgpr_spill_count: 0
    .symbol:         _Z20BlockPrefixSumKernelILi256ELi4ELN6hipcub16HIPCUB_304000_NS18BlockScanAlgorithmE0EEvPKiPi.kd
    .uniform_work_group_size: 1
    .uses_dynamic_stack: false
    .vgpr_count:     18
    .vgpr_spill_count: 0
    .wavefront_size: 32
    .workgroup_processor_mode: 1
  - .args:
      - .address_space:  global
        .offset:         0
        .size:           8
        .value_kind:     global_buffer
      - .address_space:  global
        .offset:         8
        .size:           8
        .value_kind:     global_buffer
    .group_segment_fixed_size: 4224
    .kernarg_segment_align: 8
    .kernarg_segment_size: 16
    .language:       OpenCL C
    .language_version:
      - 2
      - 0
    .max_flat_workgroup_size: 1024
    .name:           _Z20BlockPrefixSumKernelILi128ELi8ELN6hipcub16HIPCUB_304000_NS18BlockScanAlgorithmE0EEvPKiPi
    .private_segment_fixed_size: 0
    .sgpr_count:     8
    .sgpr_spill_count: 0
    .symbol:         _Z20BlockPrefixSumKernelILi128ELi8ELN6hipcub16HIPCUB_304000_NS18BlockScanAlgorithmE0EEvPKiPi.kd
    .uniform_work_group_size: 1
    .uses_dynamic_stack: false
    .vgpr_count:     26
    .vgpr_spill_count: 0
    .wavefront_size: 32
    .workgroup_processor_mode: 1
  - .args:
      - .address_space:  global
        .offset:         0
        .size:           8
        .value_kind:     global_buffer
      - .address_space:  global
        .offset:         8
        .size:           8
        .value_kind:     global_buffer
    .group_segment_fixed_size: 4224
    .kernarg_segment_align: 8
    .kernarg_segment_size: 16
    .language:       OpenCL C
    .language_version:
      - 2
      - 0
    .max_flat_workgroup_size: 1024
    .name:           _Z20BlockPrefixSumKernelILi64ELi16ELN6hipcub16HIPCUB_304000_NS18BlockScanAlgorithmE0EEvPKiPi
    .private_segment_fixed_size: 0
    .sgpr_count:     8
    .sgpr_spill_count: 0
    .symbol:         _Z20BlockPrefixSumKernelILi64ELi16ELN6hipcub16HIPCUB_304000_NS18BlockScanAlgorithmE0EEvPKiPi.kd
    .uniform_work_group_size: 1
    .uses_dynamic_stack: false
    .vgpr_count:     42
    .vgpr_spill_count: 0
    .wavefront_size: 32
    .workgroup_processor_mode: 1
amdhsa.target:   amdgcn-amd-amdhsa--gfx1030
amdhsa.version:
  - 1
  - 2
...

	.end_amdgpu_metadata
